;; amdgpu-corpus repo=ROCm/composable_kernel kind=compiled arch=gfx950 opt=O3
	.amdgcn_target "amdgcn-amd-amdhsa--gfx950"
	.amdhsa_code_object_version 6
	.section	.text._ZN2ckL12flush_icacheEv,"axG",@progbits,_ZN2ckL12flush_icacheEv,comdat
	.globl	_ZN2ckL12flush_icacheEv         ; -- Begin function _ZN2ckL12flush_icacheEv
	.p2align	8
	.type	_ZN2ckL12flush_icacheEv,@function
_ZN2ckL12flush_icacheEv:                ; @_ZN2ckL12flush_icacheEv
; %bb.0:
	;;#ASMSTART
	s_icache_inv 
	s_nop 0 
	s_nop 0 
	;; [unrolled: 1-line block ×16, first 2 shown]
	
	;;#ASMEND
	s_endpgm
	.section	.rodata,"a",@progbits
	.p2align	6, 0x0
	.amdhsa_kernel _ZN2ckL12flush_icacheEv
		.amdhsa_group_segment_fixed_size 0
		.amdhsa_private_segment_fixed_size 0
		.amdhsa_kernarg_size 0
		.amdhsa_user_sgpr_count 0
		.amdhsa_user_sgpr_dispatch_ptr 0
		.amdhsa_user_sgpr_queue_ptr 0
		.amdhsa_user_sgpr_kernarg_segment_ptr 0
		.amdhsa_user_sgpr_dispatch_id 0
		.amdhsa_user_sgpr_kernarg_preload_length 0
		.amdhsa_user_sgpr_kernarg_preload_offset 0
		.amdhsa_user_sgpr_private_segment_size 0
		.amdhsa_uses_dynamic_stack 0
		.amdhsa_enable_private_segment 0
		.amdhsa_system_sgpr_workgroup_id_x 1
		.amdhsa_system_sgpr_workgroup_id_y 0
		.amdhsa_system_sgpr_workgroup_id_z 0
		.amdhsa_system_sgpr_workgroup_info 0
		.amdhsa_system_vgpr_workitem_id 0
		.amdhsa_next_free_vgpr 1
		.amdhsa_next_free_sgpr 0
		.amdhsa_accum_offset 4
		.amdhsa_reserve_vcc 0
		.amdhsa_float_round_mode_32 0
		.amdhsa_float_round_mode_16_64 0
		.amdhsa_float_denorm_mode_32 3
		.amdhsa_float_denorm_mode_16_64 3
		.amdhsa_dx10_clamp 1
		.amdhsa_ieee_mode 1
		.amdhsa_fp16_overflow 0
		.amdhsa_tg_split 0
		.amdhsa_exception_fp_ieee_invalid_op 0
		.amdhsa_exception_fp_denorm_src 0
		.amdhsa_exception_fp_ieee_div_zero 0
		.amdhsa_exception_fp_ieee_overflow 0
		.amdhsa_exception_fp_ieee_underflow 0
		.amdhsa_exception_fp_ieee_inexact 0
		.amdhsa_exception_int_div_zero 0
	.end_amdhsa_kernel
	.section	.text._ZN2ckL12flush_icacheEv,"axG",@progbits,_ZN2ckL12flush_icacheEv,comdat
.Lfunc_end0:
	.size	_ZN2ckL12flush_icacheEv, .Lfunc_end0-_ZN2ckL12flush_icacheEv
                                        ; -- End function
	.set _ZN2ckL12flush_icacheEv.num_vgpr, 0
	.set _ZN2ckL12flush_icacheEv.num_agpr, 0
	.set _ZN2ckL12flush_icacheEv.numbered_sgpr, 0
	.set _ZN2ckL12flush_icacheEv.num_named_barrier, 0
	.set _ZN2ckL12flush_icacheEv.private_seg_size, 0
	.set _ZN2ckL12flush_icacheEv.uses_vcc, 0
	.set _ZN2ckL12flush_icacheEv.uses_flat_scratch, 0
	.set _ZN2ckL12flush_icacheEv.has_dyn_sized_stack, 0
	.set _ZN2ckL12flush_icacheEv.has_recursion, 0
	.set _ZN2ckL12flush_icacheEv.has_indirect_call, 0
	.section	.AMDGPU.csdata,"",@progbits
; Kernel info:
; codeLenInByte = 276
; TotalNumSgprs: 6
; NumVgprs: 0
; NumAgprs: 0
; TotalNumVgprs: 0
; ScratchSize: 0
; MemoryBound: 0
; FloatMode: 240
; IeeeMode: 1
; LDSByteSize: 0 bytes/workgroup (compile time only)
; SGPRBlocks: 0
; VGPRBlocks: 0
; NumSGPRsForWavesPerEU: 6
; NumVGPRsForWavesPerEU: 1
; AccumOffset: 4
; Occupancy: 8
; WaveLimiterHint : 0
; COMPUTE_PGM_RSRC2:SCRATCH_EN: 0
; COMPUTE_PGM_RSRC2:USER_SGPR: 0
; COMPUTE_PGM_RSRC2:TRAP_HANDLER: 0
; COMPUTE_PGM_RSRC2:TGID_X_EN: 1
; COMPUTE_PGM_RSRC2:TGID_Y_EN: 0
; COMPUTE_PGM_RSRC2:TGID_Z_EN: 0
; COMPUTE_PGM_RSRC2:TIDIG_COMP_CNT: 0
; COMPUTE_PGM_RSRC3_GFX90A:ACCUM_OFFSET: 0
; COMPUTE_PGM_RSRC3_GFX90A:TG_SPLIT: 0
	.section	.text._ZN2ck27kernel_gemm_xdl_cshuffle_v3INS_28GridwiseGemm_xdl_cshuffle_v3INS_13tensor_layout4gemm8RowMajorENS3_11ColumnMajorES4_NS_9f8_fnuz_tES6_fDF16_DF16_NS_16tensor_operation12element_wise11PassThroughES9_S9_LNS7_6device18GemmSpecializationE0ELi256ELi224ELi256ELi128ELi16ELi16ELi16ELi16ELi7ELi8ENS_8SequenceIJLi8ELi32ELi1EEEENSC_IJLi1ELi0ELi2EEEESE_Li2ELi16ELi16ELb0ELi0ESD_SE_SE_Li2ELi16ELi16ELb0ELi0ELi1ELi2ENSC_IJLi1ELi32ELi1ELi8EEEELi4ELNS_26BlockGemmPipelineSchedulerE0ELNS_24BlockGemmPipelineVersionE2ES6_S6_Lb0ELb0ELb0ELi0ELb0EEELb1ELNS_25InMemoryDataOperationEnumE1ELi1ELNS_10TailNumberE10EEEvNT_8ArgumentE,"axG",@progbits,_ZN2ck27kernel_gemm_xdl_cshuffle_v3INS_28GridwiseGemm_xdl_cshuffle_v3INS_13tensor_layout4gemm8RowMajorENS3_11ColumnMajorES4_NS_9f8_fnuz_tES6_fDF16_DF16_NS_16tensor_operation12element_wise11PassThroughES9_S9_LNS7_6device18GemmSpecializationE0ELi256ELi224ELi256ELi128ELi16ELi16ELi16ELi16ELi7ELi8ENS_8SequenceIJLi8ELi32ELi1EEEENSC_IJLi1ELi0ELi2EEEESE_Li2ELi16ELi16ELb0ELi0ESD_SE_SE_Li2ELi16ELi16ELb0ELi0ELi1ELi2ENSC_IJLi1ELi32ELi1ELi8EEEELi4ELNS_26BlockGemmPipelineSchedulerE0ELNS_24BlockGemmPipelineVersionE2ES6_S6_Lb0ELb0ELb0ELi0ELb0EEELb1ELNS_25InMemoryDataOperationEnumE1ELi1ELNS_10TailNumberE10EEEvNT_8ArgumentE,comdat
	.protected	_ZN2ck27kernel_gemm_xdl_cshuffle_v3INS_28GridwiseGemm_xdl_cshuffle_v3INS_13tensor_layout4gemm8RowMajorENS3_11ColumnMajorES4_NS_9f8_fnuz_tES6_fDF16_DF16_NS_16tensor_operation12element_wise11PassThroughES9_S9_LNS7_6device18GemmSpecializationE0ELi256ELi224ELi256ELi128ELi16ELi16ELi16ELi16ELi7ELi8ENS_8SequenceIJLi8ELi32ELi1EEEENSC_IJLi1ELi0ELi2EEEESE_Li2ELi16ELi16ELb0ELi0ESD_SE_SE_Li2ELi16ELi16ELb0ELi0ELi1ELi2ENSC_IJLi1ELi32ELi1ELi8EEEELi4ELNS_26BlockGemmPipelineSchedulerE0ELNS_24BlockGemmPipelineVersionE2ES6_S6_Lb0ELb0ELb0ELi0ELb0EEELb1ELNS_25InMemoryDataOperationEnumE1ELi1ELNS_10TailNumberE10EEEvNT_8ArgumentE ; -- Begin function _ZN2ck27kernel_gemm_xdl_cshuffle_v3INS_28GridwiseGemm_xdl_cshuffle_v3INS_13tensor_layout4gemm8RowMajorENS3_11ColumnMajorES4_NS_9f8_fnuz_tES6_fDF16_DF16_NS_16tensor_operation12element_wise11PassThroughES9_S9_LNS7_6device18GemmSpecializationE0ELi256ELi224ELi256ELi128ELi16ELi16ELi16ELi16ELi7ELi8ENS_8SequenceIJLi8ELi32ELi1EEEENSC_IJLi1ELi0ELi2EEEESE_Li2ELi16ELi16ELb0ELi0ESD_SE_SE_Li2ELi16ELi16ELb0ELi0ELi1ELi2ENSC_IJLi1ELi32ELi1ELi8EEEELi4ELNS_26BlockGemmPipelineSchedulerE0ELNS_24BlockGemmPipelineVersionE2ES6_S6_Lb0ELb0ELb0ELi0ELb0EEELb1ELNS_25InMemoryDataOperationEnumE1ELi1ELNS_10TailNumberE10EEEvNT_8ArgumentE
	.globl	_ZN2ck27kernel_gemm_xdl_cshuffle_v3INS_28GridwiseGemm_xdl_cshuffle_v3INS_13tensor_layout4gemm8RowMajorENS3_11ColumnMajorES4_NS_9f8_fnuz_tES6_fDF16_DF16_NS_16tensor_operation12element_wise11PassThroughES9_S9_LNS7_6device18GemmSpecializationE0ELi256ELi224ELi256ELi128ELi16ELi16ELi16ELi16ELi7ELi8ENS_8SequenceIJLi8ELi32ELi1EEEENSC_IJLi1ELi0ELi2EEEESE_Li2ELi16ELi16ELb0ELi0ESD_SE_SE_Li2ELi16ELi16ELb0ELi0ELi1ELi2ENSC_IJLi1ELi32ELi1ELi8EEEELi4ELNS_26BlockGemmPipelineSchedulerE0ELNS_24BlockGemmPipelineVersionE2ES6_S6_Lb0ELb0ELb0ELi0ELb0EEELb1ELNS_25InMemoryDataOperationEnumE1ELi1ELNS_10TailNumberE10EEEvNT_8ArgumentE
	.p2align	8
	.type	_ZN2ck27kernel_gemm_xdl_cshuffle_v3INS_28GridwiseGemm_xdl_cshuffle_v3INS_13tensor_layout4gemm8RowMajorENS3_11ColumnMajorES4_NS_9f8_fnuz_tES6_fDF16_DF16_NS_16tensor_operation12element_wise11PassThroughES9_S9_LNS7_6device18GemmSpecializationE0ELi256ELi224ELi256ELi128ELi16ELi16ELi16ELi16ELi7ELi8ENS_8SequenceIJLi8ELi32ELi1EEEENSC_IJLi1ELi0ELi2EEEESE_Li2ELi16ELi16ELb0ELi0ESD_SE_SE_Li2ELi16ELi16ELb0ELi0ELi1ELi2ENSC_IJLi1ELi32ELi1ELi8EEEELi4ELNS_26BlockGemmPipelineSchedulerE0ELNS_24BlockGemmPipelineVersionE2ES6_S6_Lb0ELb0ELb0ELi0ELb0EEELb1ELNS_25InMemoryDataOperationEnumE1ELi1ELNS_10TailNumberE10EEEvNT_8ArgumentE,@function
_ZN2ck27kernel_gemm_xdl_cshuffle_v3INS_28GridwiseGemm_xdl_cshuffle_v3INS_13tensor_layout4gemm8RowMajorENS3_11ColumnMajorES4_NS_9f8_fnuz_tES6_fDF16_DF16_NS_16tensor_operation12element_wise11PassThroughES9_S9_LNS7_6device18GemmSpecializationE0ELi256ELi224ELi256ELi128ELi16ELi16ELi16ELi16ELi7ELi8ENS_8SequenceIJLi8ELi32ELi1EEEENSC_IJLi1ELi0ELi2EEEESE_Li2ELi16ELi16ELb0ELi0ESD_SE_SE_Li2ELi16ELi16ELb0ELi0ELi1ELi2ENSC_IJLi1ELi32ELi1ELi8EEEELi4ELNS_26BlockGemmPipelineSchedulerE0ELNS_24BlockGemmPipelineVersionE2ES6_S6_Lb0ELb0ELb0ELi0ELb0EEELb1ELNS_25InMemoryDataOperationEnumE1ELi1ELNS_10TailNumberE10EEEvNT_8ArgumentE: ; @_ZN2ck27kernel_gemm_xdl_cshuffle_v3INS_28GridwiseGemm_xdl_cshuffle_v3INS_13tensor_layout4gemm8RowMajorENS3_11ColumnMajorES4_NS_9f8_fnuz_tES6_fDF16_DF16_NS_16tensor_operation12element_wise11PassThroughES9_S9_LNS7_6device18GemmSpecializationE0ELi256ELi224ELi256ELi128ELi16ELi16ELi16ELi16ELi7ELi8ENS_8SequenceIJLi8ELi32ELi1EEEENSC_IJLi1ELi0ELi2EEEESE_Li2ELi16ELi16ELb0ELi0ESD_SE_SE_Li2ELi16ELi16ELb0ELi0ELi1ELi2ENSC_IJLi1ELi32ELi1ELi8EEEELi4ELNS_26BlockGemmPipelineSchedulerE0ELNS_24BlockGemmPipelineVersionE2ES6_S6_Lb0ELb0ELb0ELi0ELb0EEELb1ELNS_25InMemoryDataOperationEnumE1ELi1ELNS_10TailNumberE10EEEvNT_8ArgumentE
; %bb.0:
	s_load_dwordx8 s[20:27], s[0:1], 0x10
	s_load_dwordx2 s[8:9], s[0:1], 0x60
	s_load_dword s12, s[0:1], 0x68
	s_load_dword s15, s[0:1], 0x3c
	s_load_dwordx4 s[4:7], s[0:1], 0x50
	s_waitcnt lgkmcnt(0)
	s_cmp_gt_i32 s26, 1
	s_cselect_b64 s[10:11], -1, 0
	s_bitcmp1_b32 s12, 0
	s_cselect_b64 s[12:13], -1, 0
	s_and_b64 s[10:11], s[10:11], s[12:13]
	s_andn2_b64 vcc, exec, s[10:11]
	s_mov_b64 s[10:11], 0
	s_cbranch_vccnz .LBB1_2
; %bb.1:
	s_mul_i32 s10, s20, s3
	s_mul_i32 s10, s10, s21
	s_ashr_i32 s11, s10, 31
.LBB1_2:
	s_load_dword s13, s[0:1], 0x34
	s_add_i32 s12, s20, -1
	s_cmpk_lt_u32 s12, 0xe0
	s_mov_b32 s1, 0
	s_cbranch_scc1 .LBB1_10
; %bb.3:
	s_add_i32 s0, s21, -1
	s_cmpk_lt_u32 s0, 0x100
	s_mov_b32 s0, 0
	s_cbranch_scc1 .LBB1_9
; %bb.4:
	s_add_i32 s0, s20, 0xdf
	s_mul_hi_i32 s1, s0, 0x92492493
	s_add_i32 s1, s1, s0
	s_lshr_b32 s0, s1, 31
	s_ashr_i32 s16, s1, 7
	s_add_i32 s16, s16, s0
	s_add_i32 s0, s21, 0xff
	s_ashr_i32 s1, s0, 31
	s_lshr_b32 s1, s1, 24
	s_add_i32 s0, s0, s1
	s_ashr_i32 s14, s0, 8
	s_mul_i32 s0, s14, s16
	s_add_i32 s1, s0, 7
	s_ashr_i32 s17, s1, 31
	s_lshr_b32 s17, s17, 29
	s_add_i32 s1, s1, s17
	s_ashr_i32 s17, s1, 3
	s_and_b32 s1, s1, -8
	s_sub_i32 s18, s0, s1
	s_ashr_i32 s0, s2, 31
	s_lshr_b32 s0, s0, 29
	s_add_i32 s27, s2, s0
	s_and_b32 s0, s27, -8
	s_add_i32 s18, s18, 8
	s_sub_i32 s19, s2, s0
	s_cmp_gt_i32 s19, s18
	s_cbranch_scc1 .LBB1_6
; %bb.5:
	s_mul_i32 s2, s17, s19
	s_ashr_i32 s0, s27, 3
	s_cbranch_execz .LBB1_7
	s_branch .LBB1_8
.LBB1_6:
                                        ; implicit-def: $sgpr2
	s_ashr_i32 s0, s27, 3
.LBB1_7:
	s_add_i32 s1, s17, -1
	s_mul_i32 s1, s1, s19
	s_add_i32 s2, s18, s1
.LBB1_8:
	s_abs_i32 s1, s14
	v_cvt_f32_u32_e32 v1, s1
	s_sub_i32 s18, 0, s1
	s_add_i32 s0, s2, s0
	s_abs_i32 s17, s0
	v_rcp_iflag_f32_e32 v1, v1
	s_xor_b32 s2, s0, s14
	s_ashr_i32 s2, s2, 31
	v_mul_f32_e32 v1, 0x4f7ffffe, v1
	v_cvt_u32_f32_e32 v1, v1
	s_nop 0
	v_readfirstlane_b32 s19, v1
	s_mul_i32 s18, s18, s19
	s_mul_hi_u32 s18, s19, s18
	s_add_i32 s19, s19, s18
	s_mul_hi_u32 s18, s17, s19
	s_mul_i32 s19, s18, s1
	s_sub_i32 s17, s17, s19
	s_add_i32 s27, s18, 1
	s_sub_i32 s19, s17, s1
	s_cmp_ge_u32 s17, s1
	s_cselect_b32 s18, s27, s18
	s_cselect_b32 s17, s19, s17
	s_add_i32 s19, s18, 1
	s_cmp_ge_u32 s17, s1
	s_cselect_b32 s1, s19, s18
	s_xor_b32 s1, s1, s2
	s_lshr_b32 s17, s16, 30
	s_sub_i32 s1, s1, s2
	s_add_i32 s17, s16, s17
	s_mul_i32 s2, s1, s14
	s_sub_i32 s0, s0, s2
	s_and_b32 s2, s17, -4
	s_sub_i32 s16, s16, s2
	s_cmp_ge_i32 s1, s2
	s_cselect_b32 s2, s16, 4
	s_abs_i32 s17, s2
	v_cvt_f32_u32_e32 v1, s17
	s_ashr_i32 s16, s1, 31
	s_lshr_b32 s16, s16, 30
	s_add_i32 s16, s1, s16
	v_rcp_iflag_f32_e32 v1, v1
	s_and_b32 s16, s16, -4
	s_sub_i32 s16, s1, s16
	s_sub_i32 s19, 0, s17
	v_mul_f32_e32 v1, 0x4f7ffffe, v1
	v_cvt_u32_f32_e32 v1, v1
	s_mul_i32 s14, s16, s14
	s_add_i32 s14, s14, s0
	s_abs_i32 s18, s14
	v_readfirstlane_b32 s27, v1
	s_mul_i32 s19, s19, s27
	s_mul_hi_u32 s19, s27, s19
	s_add_i32 s27, s27, s19
	s_mul_hi_u32 s19, s18, s27
	s_mul_i32 s27, s19, s17
	s_xor_b32 s0, s14, s2
	s_sub_i32 s18, s18, s27
	s_ashr_i32 s0, s0, 31
	s_add_i32 s27, s19, 1
	s_sub_i32 s28, s18, s17
	s_cmp_ge_u32 s18, s17
	s_cselect_b32 s19, s27, s19
	s_cselect_b32 s18, s28, s18
	s_add_i32 s27, s19, 1
	s_cmp_ge_u32 s18, s17
	s_cselect_b32 s17, s27, s19
	s_xor_b32 s17, s17, s0
	s_sub_i32 s0, s17, s0
	s_mul_i32 s2, s0, s2
	s_sub_i32 s2, s14, s2
	s_add_i32 s2, s2, s1
	s_sub_i32 s2, s2, s16
.LBB1_9:
	s_mov_b32 s1, s2
	s_mov_b32 s2, s0
.LBB1_10:
	s_add_i32 s0, s26, -1
	s_waitcnt lgkmcnt(0)
	s_mul_i32 s16, s0, s13
	s_sub_i32 s16, s22, s16
	s_mul_i32 s14, s13, s3
	s_cmp_lt_u32 s3, s0
	s_cselect_b32 s16, s13, s16
	s_ashr_i32 s3, s14, 31
	s_add_u32 s0, s4, s14
	s_addc_u32 s5, s5, s3
	v_lshrrev_b32_e32 v42, 3, v0
	s_add_u32 s4, s6, s14
	s_mul_i32 s13, s1, 0xe0
	v_and_b32_e32 v53, 7, v0
	v_mul_u32_u24_e32 v1, 7, v42
	s_addc_u32 s7, s7, s3
	s_add_i32 s3, s21, -1
	v_mad_u32_u24 v3, v42, 7, s13
	v_lshlrev_b32_e32 v2, 4, v53
	v_xor_b32_e32 v50, v1, v0
	v_bitop3_b32 v57, v1, 7, v0 bitop3:0x48
	v_mul_u32_u24_e32 v1, 0x380, v42
	s_mul_i32 s17, s3, s24
	s_lshl_b32 s14, s2, 8
	v_mad_u64_u32 v[38:39], s[2:3], v3, s23, v[2:3]
	v_lshl_or_b32 v52, v57, 4, v1
	v_and_b32_e32 v1, 0xf8, v0
	v_or_b32_e32 v3, s14, v1
	v_and_b32_e32 v39, 15, v0
	v_bitop3_b32 v54, v42, v53, 6 bitop3:0x6c
	v_mad_u64_u32 v[40:41], s[2:3], v3, s24, v[2:3]
	v_lshl_or_b32 v78, v1, 7, v2
	v_and_or_b32 v1, v42, 16, v39
	v_lshlrev_b32_e32 v2, 4, v54
	v_lshl_or_b32 v43, v1, 7, v2
	v_lshrrev_b32_e32 v1, 2, v0
	s_ashr_i32 s1, s15, 31
	v_and_b32_e32 v41, 16, v1
	s_lshr_b32 s1, s1, 29
	v_or_b32_e32 v3, v41, v39
	s_add_i32 s15, s15, s1
	s_mul_i32 s6, s12, s23
	v_lshl_or_b32 v44, v3, 7, v2
	s_ashr_i32 s15, s15, 3
	; sched_barrier mask(0x00000000)
	s_add_u32 s1, 0, 0
	s_addc_u32 s2, s16, s6
	s_and_b32 s1, s5, 0xffff
	s_mov_b32 s3, 0x20000
	buffer_load_dwordx4 v[46:49], v38, s[0:3], 0 offen
	v_add_u32_e32 v2, s23, v38
	buffer_load_dwordx4 v[58:61], v2, s[0:3], 0 offen
	v_add_u32_e32 v2, s23, v2
	buffer_load_dwordx4 v[62:65], v2, s[0:3], 0 offen
	v_add_u32_e32 v2, s23, v2
	buffer_load_dwordx4 v[66:69], v2, s[0:3], 0 offen
	v_add_u32_e32 v2, s23, v2
	buffer_load_dwordx4 v[70:73], v2, s[0:3], 0 offen
	v_add_u32_e32 v2, s23, v2
	v_add_u32_e32 v45, s23, v2
	buffer_load_dwordx4 v[74:77], v2, s[0:3], 0 offen
	buffer_load_dwordx4 v[14:17], v45, s[0:3], 0 offen
	s_add_u32 s5, 0, 0
	s_addc_u32 s6, s16, s17
	s_and_b32 s5, s7, 0xffff
	s_mov_b32 s7, s3
	v_add_u32_e32 v2, s24, v40
	buffer_load_dwordx4 v[34:37], v40, s[4:7], 0 offen
	buffer_load_dwordx4 v[30:33], v2, s[4:7], 0 offen
	v_add_u32_e32 v2, s24, v2
	buffer_load_dwordx4 v[26:29], v2, s[4:7], 0 offen
	v_add_u32_e32 v2, s24, v2
	;; [unrolled: 2-line block ×6, first 2 shown]
	buffer_load_dwordx4 v[2:5], v51, s[4:7], 0 offen
	s_mul_i32 s19, s23, -6
	s_addk_i32 s19, 0x80
	v_add_u32_e32 v56, s19, v45
	v_mad_u32_u24 v45, v42, 7, 1
	s_mul_i32 s19, s24, -7
	s_addk_i32 s19, 0x80
	v_add_u32_e32 v55, s19, v51
	v_bitop3_b32 v50, v50, 4, 7 bitop3:0x6c
	buffer_load_dwordx4 v[214:217], v56, s[0:3], 0 offen
	s_mov_b32 s16, s6
	s_movk_i32 s18, 0x80
	s_waitcnt vmcnt(15)
	ds_write_b128 v52, v[46:49]
	v_bitop3_b32 v46, v45, 7, v0 bitop3:0x48
	v_sub_u32_e32 v45, v46, v57
	v_lshlrev_b32_e32 v47, 4, v45
	v_mad_u32_u24 v48, v42, 7, 2
	v_add_u32_e32 v45, 0x80, v47
	v_add_u32_e32 v47, v52, v47
	v_bitop3_b32 v48, v48, 7, v0 bitop3:0x48
	s_waitcnt vmcnt(14)
	ds_write_b128 v47, v[58:61] offset:128
	v_sub_u32_e32 v46, v48, v46
	v_mov_b32_e32 v58, 0x80
	v_lshl_add_u32 v46, v46, 4, v58
	v_add_u32_e32 v49, v47, v46
	v_mad_u32_u24 v47, v42, 7, 3
	v_bitop3_b32 v51, v47, 7, v0 bitop3:0x48
	v_sub_u32_e32 v47, v51, v48
	v_lshl_add_u32 v47, v47, 4, v58
	v_sub_u32_e32 v48, v50, v51
	s_waitcnt vmcnt(13)
	ds_write_b128 v49, v[62:65] offset:128
	v_add_u32_e32 v49, v49, v47
	v_lshl_add_u32 v48, v48, 4, v58
	s_waitcnt vmcnt(12)
	ds_write_b128 v49, v[66:69] offset:128
	v_add_u32_e32 v51, v49, v48
	v_mad_u32_u24 v49, v42, 7, 5
	v_bitop3_b32 v59, v49, 7, v0 bitop3:0x48
	v_sub_u32_e32 v49, v59, v50
	v_mad_u32_u24 v50, v42, 7, 6
	v_bitop3_b32 v61, v50, 7, v0 bitop3:0x48
	v_lshl_add_u32 v49, v49, 4, v58
	v_sub_u32_e32 v50, v61, v59
	v_add_u32_e32 v60, v51, v49
	v_lshl_add_u32 v50, v50, 4, v58
	v_add_u32_e32 v59, v60, v50
	s_waitcnt vmcnt(11)
	ds_write_b128 v51, v[70:73] offset:128
	s_waitcnt vmcnt(10)
	ds_write_b128 v60, v[74:77] offset:128
	;; [unrolled: 2-line block ×3, first 2 shown]
	v_sub_u32_e32 v14, v57, v61
	v_mov_b32_e32 v15, 0xfffffd00
	v_bitop3_b32 v16, v0, 1, 7 bitop3:0x6c
	v_lshl_add_u32 v14, v14, 4, v15
	v_sub_u32_e32 v15, v16, v53
	v_lshlrev_b32_e32 v15, 4, v15
	v_add_u32_e32 v17, v78, v15
	s_waitcnt vmcnt(8)
	ds_write_b128 v78, v[34:37] offset:28672
	v_add_u32_e32 v34, 0x80, v17
	s_waitcnt vmcnt(7)
	ds_write_b128 v17, v[30:33] offset:28800
	v_bitop3_b32 v17, v0, 2, 7 bitop3:0x6c
	v_sub_u32_e32 v16, v17, v16
	v_lshlrev_b32_e32 v30, 4, v16
	v_add_u32_e32 v16, 0x80, v30
	v_add_u32_e32 v30, v30, v34
	s_waitcnt vmcnt(6)
	ds_write_b128 v30, v[26:29] offset:28800
	v_bitop3_b32 v26, v0, 3, 7 bitop3:0x6c
	v_sub_u32_e32 v17, v26, v17
	v_lshl_add_u32 v17, v17, 4, v58
	v_add_u32_e32 v28, v30, v17
	s_waitcnt vmcnt(5)
	ds_write_b128 v28, v[22:25] offset:28800
	v_bitop3_b32 v23, v0, 4, 7 bitop3:0x6c
	v_sub_u32_e32 v22, v23, v26
	v_lshl_add_u32 v22, v22, 4, v58
	;; [unrolled: 6-line block ×5, first 2 shown]
	v_add_u32_e32 v9, v12, v6
	s_waitcnt vmcnt(1)
	ds_write_b128 v9, v[2:5] offset:28800
	v_add_u32_e32 v3, s23, v56
	v_add3_u32 v27, v16, v34, v17
	buffer_load_dwordx4 v[32:35], v3, s[0:3], 0 offen
	v_add_u32_e32 v3, s23, v3
	buffer_load_dwordx4 v[166:169], v3, s[0:3], 0 offen
	v_add_u32_e32 v3, s23, v3
	;; [unrolled: 2-line block ×5, first 2 shown]
	buffer_load_dwordx4 v[182:185], v3, s[0:3], 0 offen
	buffer_load_dwordx4 v[186:189], v55, s[4:7], 0 offen
	v_add_u32_e32 v3, s24, v55
	buffer_load_dwordx4 v[190:193], v3, s[4:7], 0 offen
	v_add_u32_e32 v3, s24, v3
	buffer_load_dwordx4 v[194:197], v3, s[4:7], 0 offen
	v_add_u32_e32 v3, s24, v3
	buffer_load_dwordx4 v[198:201], v3, s[4:7], 0 offen
	v_add_u32_e32 v3, s24, v3
	buffer_load_dwordx4 v[202:205], v3, s[4:7], 0 offen
	v_add_u32_e32 v3, s24, v3
	buffer_load_dwordx4 v[206:209], v3, s[4:7], 0 offen
	v_add_u32_e32 v3, s24, v3
	buffer_load_dwordx4 v[210:213], v3, s[4:7], 0 offen
	v_add_u32_e32 v3, s24, v3
	buffer_load_dwordx4 v[218:221], v3, s[4:7], 0 offen
	v_and_b32_e32 v3, 6, v42
	v_bitop3_b32 v3, v3, v53, 1 bitop3:0x36
	v_sub_u32_e32 v3, v3, v54
	v_lshlrev_b32_e32 v4, 4, v3
	v_add_u32_e32 v3, v43, v4
	v_add_u32_e32 v4, v44, v4
	v_add3_u32 v20, v27, v22, v18
	s_waitcnt lgkmcnt(0)
	s_barrier
	ds_read_b128 v[158:161], v43
	ds_read_b128 v[162:165], v3
	ds_read_b128 v[150:153], v43 offset:4096
	ds_read_b128 v[154:157], v3 offset:4096
	;; [unrolled: 1-line block ×28, first 2 shown]
	v_add_u32_e32 v51, v45, v46
	v_add3_u32 v51, v51, v47, v48
	v_add3_u32 v51, v51, v49, v50
	v_sub_u32_e32 v2, v53, v8
	v_add_u32_e32 v52, v51, v52
	v_add3_u32 v7, v20, v10, v6
	v_lshlrev_b32_e32 v2, 4, v2
	; sched_barrier mask(0x00000000)
	v_add_u32_e32 v5, v15, v16
	v_add3_u32 v5, v5, v17, v22
	s_max_i32 s6, s15, 2
	v_add3_u32 v5, v5, v18, v10
	v_add3_u32 v5, v5, v6, s18
	v_add_u32_e32 v8, 0x100, v40
	v_add_u32_e32 v9, 0x100, v38
	s_add_i32 s15, s6, -1
	v_accvgpr_write_b32 a223, 0
	v_accvgpr_write_b32 a222, 0
	;; [unrolled: 1-line block ×224, first 2 shown]
	s_mov_b32 s6, s16
.LBB1_11:                               ; =>This Inner Loop Header: Depth=1
	v_add_u32_e32 v11, v14, v52
	v_add_u32_e32 v12, v11, v45
	s_waitcnt lgkmcnt(0)
	s_barrier
	s_waitcnt vmcnt(14)
	ds_write_b128 v11, v[214:217]
	v_mfma_f32_16x16x128_f8f6f4 a[220:223], v[158:165], v[110:117], a[220:223]
	buffer_load_dwordx4 v[214:217], v9, s[0:3], 0 offen
	v_add_u32_e32 v13, s23, v9
	v_accvgpr_read_b32 v222, a36
	v_accvgpr_read_b32 v225, a39
	v_accvgpr_read_b32 v224, a38
	v_accvgpr_read_b32 v223, a37
	v_accvgpr_read_b32 v229, a35
	v_mfma_f32_16x16x128_f8f6f4 a[216:219], v[158:165], v[102:109], a[216:219]
	s_waitcnt vmcnt(14)
	ds_write_b128 v12, v[32:35]
	v_add_u32_e32 v12, v12, v46
	v_accvgpr_read_b32 v228, a34
	v_accvgpr_write_b32 a34, v222
	v_accvgpr_read_b32 v226, a32
	v_accvgpr_mov_b32 a38, a40
	v_accvgpr_read_b32 v227, a33
	v_mfma_f32_16x16x128_f8f6f4 a[212:215], v[158:165], v[94:101], a[212:215]
	buffer_load_dwordx4 v[32:35], v13, s[0:3], 0 offen
	v_add_u32_e32 v13, s23, v13
	v_accvgpr_write_b32 a35, v223
	v_accvgpr_write_b32 a36, v224
	;; [unrolled: 1-line block ×3, first 2 shown]
	v_accvgpr_read_b32 v225, a31
	v_accvgpr_read_b32 v224, a30
	v_mfma_f32_16x16x128_f8f6f4 a[208:211], v[158:165], v[86:93], a[208:211]
	s_waitcnt vmcnt(14)
	ds_write_b128 v12, v[166:169]
	v_add_u32_e32 v12, v12, v47
	v_accvgpr_write_b32 a30, v226
	v_accvgpr_mov_b32 a39, a41
	v_accvgpr_mov_b32 a40, a42
	;; [unrolled: 1-line block ×3, first 2 shown]
	v_accvgpr_write_b32 a31, v227
	v_mfma_f32_16x16x128_f8f6f4 a[100:103], v[126:133], v[94:101], a[100:103]
	buffer_load_dwordx4 v[166:169], v13, s[0:3], 0 offen
	v_add_u32_e32 v13, s23, v13
	v_accvgpr_write_b32 a32, v228
	v_accvgpr_write_b32 a33, v229
	v_accvgpr_read_b32 v222, a28
	v_accvgpr_read_b32 v223, a29
	;; [unrolled: 1-line block ×3, first 2 shown]
	v_mfma_f32_16x16x128_f8f6f4 a[64:67], v[126:133], v[24:31], a[64:67]
	s_waitcnt vmcnt(14)
	ds_write_b128 v12, v[170:173]
	v_add_u32_e32 v12, v12, v48
	v_accvgpr_read_b32 v52, a200
	; sched_group_barrier mask(0x00000200) size(1) SyncID(0)
	; sched_group_barrier mask(0x00000008) size(1) SyncID(0)
	; sched_group_barrier mask(0x00000020) size(1) SyncID(0)
	; sched_group_barrier mask(0x00000008) size(1) SyncID(0)
	; sched_group_barrier mask(0x00000200) size(1) SyncID(0)
	; sched_group_barrier mask(0x00000008) size(1) SyncID(0)
	; sched_group_barrier mask(0x00000020) size(1) SyncID(0)
	; sched_group_barrier mask(0x00000008) size(1) SyncID(0)
	; sched_group_barrier mask(0x00000200) size(1) SyncID(0)
	; sched_group_barrier mask(0x00000008) size(1) SyncID(0)
	; sched_group_barrier mask(0x00000020) size(1) SyncID(0)
	; sched_group_barrier mask(0x00000008) size(1) SyncID(0)
	; sched_group_barrier mask(0x00000200) size(1) SyncID(0)
	v_mfma_f32_16x16x128_f8f6f4 a[136:139], v[126:133], v[86:93], a[136:139]
	buffer_load_dwordx4 v[170:173], v13, s[0:3], 0 offen
	v_add_u32_e32 v13, s23, v13
	; sched_group_barrier mask(0x00000008) size(1) SyncID(0)
	; sched_group_barrier mask(0x00000020) size(1) SyncID(0)
	v_mfma_f32_16x16x128_f8f6f4 a[68:71], v[126:133], v[62:69], a[68:71]
	s_waitcnt vmcnt(14)
	ds_write_b128 v12, v[174:177]
	v_add_u32_e32 v12, v12, v49
	; sched_group_barrier mask(0x00000008) size(1) SyncID(0)
	; sched_group_barrier mask(0x00000200) size(1) SyncID(0)
	v_mfma_f32_16x16x128_f8f6f4 a[76:79], v[126:133], v[78:85], a[76:79]
	buffer_load_dwordx4 v[174:177], v13, s[0:3], 0 offen
	v_add_u32_e32 v13, s23, v13
	; sched_group_barrier mask(0x00000008) size(1) SyncID(0)
	; sched_group_barrier mask(0x00000020) size(1) SyncID(0)
	v_mfma_f32_16x16x128_f8f6f4 a[72:75], v[126:133], v[70:77], a[72:75]
	s_waitcnt vmcnt(14)
	ds_write_b128 v12, v[178:181]
	v_add_u32_e32 v12, v12, v50
	; sched_group_barrier mask(0x00000008) size(1) SyncID(0)
	; sched_group_barrier mask(0x00000200) size(1) SyncID(0)
	v_mfma_f32_16x16x128_f8f6f4 a[44:47], v[118:125], v[78:85], a[44:47]
	buffer_load_dwordx4 v[178:181], v13, s[0:3], 0 offen
	; sched_group_barrier mask(0x00000008) size(1) SyncID(0)
	; sched_group_barrier mask(0x00000020) size(1) SyncID(0)
	v_mfma_f32_16x16x128_f8f6f4 a[48:51], v[118:125], v[86:93], a[48:51]
	s_waitcnt vmcnt(14)
	ds_write_b128 v12, v[182:185]
	v_add_u32_e32 v12, s23, v13
	v_add_u32_e32 v13, s24, v8
	; sched_group_barrier mask(0x00000008) size(1) SyncID(0)
	; sched_group_barrier mask(0x00000200) size(1) SyncID(0)
	v_mfma_f32_16x16x128_f8f6f4 a[60:63], v[118:125], v[110:117], a[60:63]
	buffer_load_dwordx4 v[182:185], v12, s[0:3], 0 offen
	v_add_u32_e32 v12, v2, v7
	; sched_group_barrier mask(0x00000008) size(1) SyncID(0)
	; sched_group_barrier mask(0x00000020) size(1) SyncID(0)
	v_mfma_f32_16x16x128_f8f6f4 a[56:59], v[118:125], v[102:109], a[56:59]
	s_waitcnt vmcnt(14)
	ds_write_b128 v12, v[186:189] offset:27776
	v_add_u32_e32 v12, 0xfffffc80, v2
	v_add_u32_e32 v7, v12, v7
	;; [unrolled: 1-line block ×4, first 2 shown]
	; sched_group_barrier mask(0x00000008) size(1) SyncID(0)
	; sched_group_barrier mask(0x00000200) size(1) SyncID(0)
	v_mfma_f32_16x16x128_f8f6f4 a[52:55], v[118:125], v[94:101], a[52:55]
	buffer_load_dwordx4 v[186:189], v8, s[4:7], 0 offen
	; sched_group_barrier mask(0x00000008) size(1) SyncID(0)
	; sched_group_barrier mask(0x00000020) size(1) SyncID(0)
	v_mfma_f32_16x16x128_f8f6f4 a[40:43], v[118:125], v[70:77], a[38:41]
	s_waitcnt vmcnt(14)
	ds_write_b128 v12, v[190:193] offset:28800
	v_add_u32_e32 v12, v12, v16
	; sched_group_barrier mask(0x00000008) size(1) SyncID(0)
	; sched_group_barrier mask(0x00000200) size(1) SyncID(0)
	v_mfma_f32_16x16x128_f8f6f4 a[36:39], v[118:125], v[62:69], a[34:37]
	buffer_load_dwordx4 v[190:193], v13, s[4:7], 0 offen
	v_add_u32_e32 v13, s24, v13
	; sched_group_barrier mask(0x00000008) size(1) SyncID(0)
	; sched_group_barrier mask(0x00000020) size(1) SyncID(0)
	v_mfma_f32_16x16x128_f8f6f4 a[32:35], v[118:125], v[24:31], a[30:33]
	v_accvgpr_read_b32 v118, a24
	v_accvgpr_read_b32 v121, a27
	;; [unrolled: 1-line block ×6, first 2 shown]
	v_accvgpr_write_b32 a22, v118
	v_accvgpr_read_b32 v122, a20
	v_accvgpr_read_b32 v123, a21
	v_accvgpr_write_b32 a23, v119
	v_accvgpr_write_b32 a24, v120
	;; [unrolled: 1-line block ×3, first 2 shown]
	v_accvgpr_read_b32 v121, a19
	v_accvgpr_read_b32 v120, a18
	v_accvgpr_write_b32 a18, v122
	v_accvgpr_read_b32 v118, a16
	v_accvgpr_write_b32 a26, v222
	;; [unrolled: 2-line block ×3, first 2 shown]
	v_accvgpr_write_b32 a20, v124
	v_accvgpr_write_b32 a21, v125
	v_accvgpr_read_b32 v125, a15
	v_accvgpr_read_b32 v124, a14
	v_accvgpr_write_b32 a14, v118
	v_accvgpr_read_b32 v122, a12
	v_accvgpr_write_b32 a27, v223
	v_accvgpr_write_b32 a28, v224
	;; [unrolled: 1-line block ×3, first 2 shown]
	v_accvgpr_read_b32 v123, a13
	v_accvgpr_write_b32 a15, v119
	v_accvgpr_write_b32 a16, v120
	;; [unrolled: 1-line block ×3, first 2 shown]
	v_accvgpr_read_b32 v121, a11
	v_accvgpr_read_b32 v120, a10
	v_accvgpr_write_b32 a10, v122
	v_accvgpr_read_b32 v118, a8
	v_accvgpr_read_b32 v119, a9
	v_accvgpr_write_b32 a11, v123
	v_accvgpr_write_b32 a12, v124
	;; [unrolled: 1-line block ×3, first 2 shown]
	v_accvgpr_read_b32 v125, a7
	v_accvgpr_read_b32 v124, a6
	v_accvgpr_write_b32 a6, v118
	s_waitcnt vmcnt(14)
	ds_write_b128 v12, v[194:197] offset:28800
	v_mfma_f32_16x16x128_f8f6f4 a[28:31], v[54:61], v[110:117], a[26:29]
	buffer_load_dwordx4 v[194:197], v13, s[4:7], 0 offen
	v_add_u32_e32 v12, v12, v17
	v_add_u32_e32 v13, s24, v13
	v_accvgpr_write_b32 a7, v119
	v_accvgpr_write_b32 a8, v120
	;; [unrolled: 1-line block ×3, first 2 shown]
	v_accvgpr_read_b32 v122, a4
	v_mfma_f32_16x16x128_f8f6f4 a[24:27], v[54:61], v[102:109], a[22:25]
	s_waitcnt vmcnt(14)
	ds_write_b128 v12, v[198:201] offset:28800
	v_add_u32_e32 v12, v12, v22
	v_accvgpr_read_b32 v123, a5
	; sched_group_barrier mask(0x00000008) size(1) SyncID(0)
	; sched_group_barrier mask(0x00000200) size(1) SyncID(0)
	;; [unrolled: 1-line block ×6, first 2 shown]
	v_mfma_f32_16x16x128_f8f6f4 a[20:23], v[54:61], v[94:101], a[18:21]
	buffer_load_dwordx4 v[198:201], v13, s[4:7], 0 offen
	v_add_u32_e32 v13, s24, v13
	; sched_group_barrier mask(0x00000008) size(1) SyncID(0)
	; sched_group_barrier mask(0x00000020) size(1) SyncID(0)
	v_mfma_f32_16x16x128_f8f6f4 a[16:19], v[54:61], v[86:93], a[14:17]
	s_waitcnt vmcnt(14)
	ds_write_b128 v12, v[202:205] offset:28800
	v_add_u32_e32 v12, v12, v18
	; sched_group_barrier mask(0x00000008) size(1) SyncID(0)
	; sched_group_barrier mask(0x00000200) size(1) SyncID(0)
	v_mfma_f32_16x16x128_f8f6f4 a[12:15], v[54:61], v[78:85], a[10:13]
	buffer_load_dwordx4 v[202:205], v13, s[4:7], 0 offen
	v_add_u32_e32 v13, s24, v13
	; sched_group_barrier mask(0x00000008) size(1) SyncID(0)
	; sched_group_barrier mask(0x00000020) size(1) SyncID(0)
	v_mfma_f32_16x16x128_f8f6f4 a[8:11], v[54:61], v[70:77], a[6:9]
	v_accvgpr_write_b32 a4, v122
	v_accvgpr_write_b32 a5, v123
	s_waitcnt vmcnt(14)
	ds_write_b128 v12, v[206:209] offset:28800
	v_add_u32_e32 v12, v12, v10
	; sched_group_barrier mask(0x00000008) size(1) SyncID(0)
	; sched_group_barrier mask(0x00000200) size(1) SyncID(0)
	v_mfma_f32_16x16x128_f8f6f4 a[108:111], v[134:141], v[94:101], a[108:111]
	s_nop 0
	v_accvgpr_write_b32 a6, v124
	v_accvgpr_write_b32 a7, v125
	s_nop 1
	v_mfma_f32_16x16x128_f8f6f4 a[4:7], v[54:61], v[62:69], a[4:7]
	buffer_load_dwordx4 v[206:209], v13, s[4:7], 0 offen
	v_add_u32_e32 v13, s24, v13
	; sched_group_barrier mask(0x00000008) size(1) SyncID(0)
	; sched_group_barrier mask(0x00000020) size(1) SyncID(0)
	v_mfma_f32_16x16x128_f8f6f4 a[0:3], v[54:61], v[24:31], a[0:3]
	v_accvgpr_read_b32 v55, a203
	v_accvgpr_read_b32 v54, a202
	v_accvgpr_mov_b32 a200, a204
	v_accvgpr_mov_b32 a201, a205
	;; [unrolled: 1-line block ×4, first 2 shown]
	v_accvgpr_read_b32 v57, a199
	v_accvgpr_read_b32 v56, a198
	s_waitcnt vmcnt(14)
	ds_write_b128 v12, v[210:213] offset:28800
	v_mfma_f32_16x16x128_f8f6f4 a[204:207], v[158:165], v[78:85], a[200:203]
	v_accvgpr_read_b32 v59, a195
	v_accvgpr_read_b32 v58, a194
	v_add_u32_e32 v12, v12, v6
	buffer_load_dwordx4 v[210:213], v13, s[4:7], 0 offen
	; sched_group_barrier mask(0x00000008) size(1) SyncID(0)
	; sched_group_barrier mask(0x00000200) size(1) SyncID(0)
	;; [unrolled: 1-line block ×4, first 2 shown]
	v_mfma_f32_16x16x128_f8f6f4 a[124:127], v[142:149], v[24:31], a[124:127]
	s_nop 1
	v_accvgpr_write_b32 a201, v55
	v_accvgpr_write_b32 a200, v54
	;; [unrolled: 1-line block ×4, first 2 shown]
	v_accvgpr_read_b32 v55, a197
	v_accvgpr_read_b32 v54, a196
	v_accvgpr_write_b32 a197, v57
	v_mfma_f32_16x16x128_f8f6f4 a[200:203], v[158:165], v[70:77], a[198:201]
	v_accvgpr_write_b32 a196, v56
	v_accvgpr_write_b32 a195, v55
	;; [unrolled: 1-line block ×3, first 2 shown]
	s_waitcnt vmcnt(14)
	ds_write_b128 v12, v[218:221] offset:28800
	v_add_u32_e32 v12, s24, v13
	v_accvgpr_read_b32 v57, a193
	v_accvgpr_read_b32 v56, a192
	v_mfma_f32_16x16x128_f8f6f4 a[196:199], v[158:165], v[62:69], a[194:197]
	buffer_load_dwordx4 v[218:221], v12, s[4:7], 0 offen
	v_accvgpr_read_b32 v55, a191
	v_accvgpr_read_b32 v54, a190
	v_accvgpr_write_b32 a193, v59
	v_accvgpr_write_b32 a192, v58
	v_accvgpr_write_b32 a191, v57
	v_accvgpr_write_b32 a190, v56
	v_accvgpr_read_b32 v53, a189
	v_accvgpr_read_b32 v52, a188
	v_accvgpr_read_b32 v57, a187
	v_accvgpr_read_b32 v56, a186
	v_accvgpr_write_b32 a189, v55
	v_accvgpr_write_b32 a188, v54
	v_accvgpr_write_b32 a187, v53
	v_accvgpr_write_b32 a186, v52
	v_accvgpr_read_b32 v55, a185
	v_accvgpr_read_b32 v54, a184
	;; [unrolled: 8-line block ×11, first 2 shown]
	v_accvgpr_read_b32 v59, a147
	v_accvgpr_read_b32 v58, a146
	v_accvgpr_write_b32 a149, v57
	v_accvgpr_write_b32 a148, v56
	;; [unrolled: 1-line block ×4, first 2 shown]
	v_mfma_f32_16x16x128_f8f6f4 a[192:195], v[158:165], v[24:31], a[190:193]
	v_accvgpr_read_b32 v57, a145
	v_accvgpr_read_b32 v56, a144
	s_waitcnt lgkmcnt(0)
	s_barrier
	ds_read_b128 v[158:161], v43
	ds_read_b128 v[162:165], v3
	v_add_u32_e32 v52, v11, v51
	v_mfma_f32_16x16x128_f8f6f4 a[188:191], v[150:157], v[110:117], a[186:189]
	ds_read_b128 v[118:121], v43 offset:20480
	ds_read_b128 v[122:125], v3 offset:20480
	; sched_group_barrier mask(0x00000008) size(1) SyncID(0)
	; sched_group_barrier mask(0x00000200) size(1) SyncID(0)
	; sched_group_barrier mask(0x00000008) size(1) SyncID(0)
	; sched_group_barrier mask(0x00000020) size(1) SyncID(0)
	; sched_group_barrier mask(0x00000008) size(1) SyncID(0)
	; sched_group_barrier mask(0x00000100) size(2) SyncID(0)
	; sched_group_barrier mask(0x00000008) size(1) SyncID(0)
	; sched_group_barrier mask(0x00000100) size(2) SyncID(0)
	v_mfma_f32_16x16x128_f8f6f4 a[184:187], v[150:157], v[102:109], a[182:185]
	; sched_group_barrier mask(0x00000008) size(1) SyncID(0)
	v_mfma_f32_16x16x128_f8f6f4 a[120:123], v[134:141], v[110:117], a[120:123]
	v_mfma_f32_16x16x128_f8f6f4 a[116:119], v[134:141], v[102:109], a[116:119]
	;; [unrolled: 1-line block ×4, first 2 shown]
	ds_read_b128 v[126:129], v43 offset:16384
	ds_read_b128 v[130:133], v3 offset:16384
	; sched_group_barrier mask(0x00000100) size(2) SyncID(0)
	v_mfma_f32_16x16x128_f8f6f4 a[180:183], v[150:157], v[94:101], a[178:181]
	; sched_group_barrier mask(0x00000008) size(1) SyncID(0)
	v_mfma_f32_16x16x128_f8f6f4 a[112:115], v[134:141], v[86:93], a[112:115]
	v_mfma_f32_16x16x128_f8f6f4 a[104:107], v[134:141], v[78:85], a[104:107]
	;; [unrolled: 1-line block ×5, first 2 shown]
	ds_read_b128 v[134:137], v43 offset:12288
	ds_read_b128 v[138:141], v3 offset:12288
	; sched_group_barrier mask(0x00000100) size(2) SyncID(0)
	v_mfma_f32_16x16x128_f8f6f4 a[176:179], v[150:157], v[86:93], a[174:177]
	; sched_group_barrier mask(0x00000008) size(1) SyncID(0)
	v_mfma_f32_16x16x128_f8f6f4 a[172:175], v[150:157], v[78:85], a[170:173]
	v_mfma_f32_16x16x128_f8f6f4 a[168:171], v[150:157], v[70:77], a[166:169]
	v_mfma_f32_16x16x128_f8f6f4 a[164:167], v[150:157], v[62:69], a[162:165]
	v_mfma_f32_16x16x128_f8f6f4 a[160:163], v[150:157], v[24:31], a[158:161]
	ds_read_b128 v[24:27], v44 offset:57344
	ds_read_b128 v[28:31], v4 offset:57344
	; sched_group_barrier mask(0x00000100) size(2) SyncID(0)
	; sched_group_barrier mask(0x00000008) size(1) SyncID(0)
	v_mfma_f32_16x16x128_f8f6f4 a[128:131], v[142:149], v[62:69], a[128:131]
	ds_read_b128 v[62:65], v44 offset:53248
	ds_read_b128 v[66:69], v4 offset:53248
	; sched_group_barrier mask(0x00000100) size(2) SyncID(0)
	; sched_group_barrier mask(0x00000008) size(1) SyncID(0)
	v_mfma_f32_16x16x128_f8f6f4 a[132:135], v[142:149], v[70:77], a[132:135]
	;; [unrolled: 5-line block ×3, first 2 shown]
	ds_read_b128 v[78:81], v44 offset:45056
	ds_read_b128 v[82:85], v4 offset:45056
	;; [unrolled: 1-line block ×4, first 2 shown]
	; sched_group_barrier mask(0x00000100) size(2) SyncID(0)
	; sched_group_barrier mask(0x00000008) size(1) SyncID(0)
	;; [unrolled: 1-line block ×3, first 2 shown]
	v_mfma_f32_16x16x128_f8f6f4 a[156:159], v[142:149], v[110:117], a[154:157]
	ds_read_b128 v[110:113], v44 offset:28672
	ds_read_b128 v[114:117], v4 offset:28672
	; sched_group_barrier mask(0x00000008) size(1) SyncID(0)
	; sched_group_barrier mask(0x00000100) size(2) SyncID(0)
	v_mfma_f32_16x16x128_f8f6f4 a[152:155], v[142:149], v[102:109], a[150:153]
	ds_read_b128 v[102:105], v44 offset:32768
	ds_read_b128 v[106:109], v4 offset:32768
	; sched_group_barrier mask(0x00000008) size(1) SyncID(0)
	; sched_group_barrier mask(0x00000100) size(2) SyncID(0)
	v_mfma_f32_16x16x128_f8f6f4 a[148:151], v[142:149], v[94:101], a[146:149]
	; sched_group_barrier mask(0x00000008) size(1) SyncID(0)
	s_nop 6
	v_accvgpr_write_b32 a147, v59
	v_accvgpr_write_b32 a146, v58
	;; [unrolled: 1-line block ×4, first 2 shown]
	ds_read_b128 v[54:57], v43 offset:24576
	ds_read_b128 v[58:61], v3 offset:24576
	v_mfma_f32_16x16x128_f8f6f4 a[144:147], v[142:149], v[86:93], a[144:147]
	ds_read_b128 v[94:97], v44 offset:36864
	ds_read_b128 v[98:101], v4 offset:36864
	;; [unrolled: 1-line block ×6, first 2 shown]
	; sched_group_barrier mask(0x00000100) size(2) SyncID(0)
	; sched_group_barrier mask(0x00000008) size(1) SyncID(0)
	;; [unrolled: 1-line block ×8, first 2 shown]
	; sched_barrier mask(0x00000000)
	s_add_i32 s15, s15, -1
	v_add_u32_e32 v8, 0x80, v8
	s_cmp_lg_u32 s15, 0
	v_add_u32_e32 v9, 0x80, v9
	s_cbranch_scc1 .LBB1_11
; %bb.12:
	s_waitcnt lgkmcnt(10)
	v_mfma_f32_16x16x128_f8f6f4 a[220:223], v[158:165], v[110:117], a[220:223]
	v_lshlrev_b32_e32 v0, 3, v0
	v_and_b32_e32 v4, 56, v0
	v_and_b32_e32 v1, 12, v1
	v_or_b32_e32 v6, s14, v4
	v_or_b32_e32 v3, s13, v42
	v_and_or_b32 v2, v42, 16, v1
	v_mad_u64_u32 v[0:1], s[2:3], v3, s25, v[6:7]
	s_waitcnt lgkmcnt(8)
	v_mfma_f32_16x16x128_f8f6f4 a[216:219], v[158:165], v[102:109], a[216:219]
	s_waitcnt lgkmcnt(0)
	s_barrier
	s_lshl_b64 s[0:1], s[10:11], 1
	v_accvgpr_read_b32 v1, a220
	v_cvt_f16_f32_e32 v5, v1
	v_lshlrev_b32_e32 v1, 1, v39
	v_lshl_or_b32 v1, v2, 7, v1
	v_lshl_add_u32 v1, v41, 1, v1
	v_accvgpr_read_b32 v2, a221
	ds_write_b16 v1, v5
	v_cvt_f16_f32_e32 v2, v2
	v_accvgpr_read_b32 v5, a222
	v_cvt_f16_f32_e32 v5, v5
	v_accvgpr_read_b32 v7, a223
	;; [unrolled: 2-line block ×3, first 2 shown]
	v_cvt_f16_f32_e32 v8, v8
	ds_write_b16 v1, v2 offset:128
	ds_write_b16 v1, v5 offset:256
	;; [unrolled: 1-line block ×4, first 2 shown]
	v_accvgpr_read_b32 v2, a218
	v_cvt_f16_f32_e32 v2, v2
	v_accvgpr_read_b32 v5, a217
	v_cvt_f16_f32_e32 v5, v5
	;; [unrolled: 2-line block ×3, first 2 shown]
	s_add_u32 s28, s8, s0
	ds_write_b16 v1, v2 offset:320
	v_lshlrev_b32_e32 v2, 1, v4
	s_addc_u32 s29, s9, s1
	s_mul_i32 s0, s12, s25
	s_mul_hi_u32 s1, 0, s25
	v_lshl_or_b32 v2, v42, 7, v2
	s_add_i32 s0, s1, s0
	ds_write_b16 v1, v5 offset:192
	ds_write_b16 v1, v7 offset:64
	s_waitcnt lgkmcnt(0)
	s_barrier
	ds_read_b64 v[8:9], v2
	v_cmp_gt_i32_e32 vcc, s21, v6
	v_cmp_gt_i32_e64 s[14:15], s20, v3
	s_add_i32 s0, s21, s0
	s_lshl_b32 s30, s0, 1
	v_bfrev_b32_e32 v4, 1
	s_and_b64 s[0:1], s[14:15], vcc
	v_mfma_f32_16x16x128_f8f6f4 a[212:215], v[158:165], v[94:101], a[212:215]
	v_lshlrev_b32_e32 v5, 1, v0
	v_cndmask_b32_e64 v7, v4, 0, s[0:1]
	s_mov_b32 s31, 0x20000
	v_add_u32_e32 v7, v7, v5
	s_waitcnt lgkmcnt(0)
	buffer_atomic_pk_add_f16 v8, v7, s[28:31], 0 offen
	buffer_atomic_pk_add_f16 v9, v7, s[28:31], 4 offen
	v_or_b32_e32 v7, 4, v6
	ds_read_b64 v[8:9], v2 offset:8
	v_cmp_gt_i32_e64 s[0:1], s21, v7
	v_mfma_f32_16x16x128_f8f6f4 a[208:211], v[158:165], v[86:93], a[208:211]
	s_and_b64 s[2:3], s[14:15], s[0:1]
	v_cndmask_b32_e64 v7, v4, 0, s[2:3]
	v_add_u32_e32 v7, v5, v7
	s_waitcnt lgkmcnt(0)
	buffer_atomic_pk_add_f16 v8, v7, s[28:31], 0 offen offset:8
	buffer_atomic_pk_add_f16 v9, v7, s[28:31], 4 offen offset:8
	v_accvgpr_read_b32 v8, a212
	v_cvt_f16_f32_e32 v8, v8
	v_accvgpr_read_b32 v9, a213
	v_cvt_f16_f32_e32 v9, v9
	;; [unrolled: 2-line block ×4, first 2 shown]
	s_waitcnt lgkmcnt(0)
	s_barrier
	ds_write_b16 v1, v8
	ds_write_b16 v1, v9 offset:128
	ds_write_b16 v1, v10 offset:256
	ds_write_b16 v1, v11 offset:384
	v_accvgpr_read_b32 v8, a211
	v_cvt_f16_f32_e32 v8, v8
	v_accvgpr_read_b32 v9, a210
	v_cvt_f16_f32_e32 v9, v9
	;; [unrolled: 2-line block ×4, first 2 shown]
	v_or_b32_e32 v7, 64, v6
	ds_write_b16 v1, v8 offset:448
	ds_write_b16 v1, v9 offset:320
	;; [unrolled: 1-line block ×4, first 2 shown]
	s_waitcnt lgkmcnt(0)
	s_barrier
	ds_read_b64 v[8:9], v2
	v_cmp_gt_i32_e64 s[2:3], s21, v7
	s_and_b64 s[4:5], s[14:15], s[2:3]
	v_cndmask_b32_e64 v7, v4, 0, s[4:5]
	v_mfma_f32_16x16x128_f8f6f4 a[204:207], v[158:165], v[78:85], a[204:207]
	v_add_u32_e32 v7, v5, v7
	s_waitcnt lgkmcnt(0)
	buffer_atomic_pk_add_f16 v8, v7, s[28:31], 0 offen offset:128
	buffer_atomic_pk_add_f16 v9, v7, s[28:31], 4 offen offset:128
	v_or_b32_e32 v7, 0x44, v6
	ds_read_b64 v[8:9], v2 offset:8
	v_cmp_gt_i32_e64 s[4:5], s21, v7
	s_and_b64 s[6:7], s[14:15], s[4:5]
	v_cndmask_b32_e64 v7, v4, 0, s[6:7]
	v_add_u32_e32 v7, v5, v7
	s_waitcnt lgkmcnt(0)
	buffer_atomic_pk_add_f16 v8, v7, s[28:31], 0 offen offset:136
	buffer_atomic_pk_add_f16 v9, v7, s[28:31], 4 offen offset:136
	v_mfma_f32_16x16x128_f8f6f4 a[200:203], v[158:165], v[70:77], a[200:203]
	v_accvgpr_read_b32 v7, a204
	v_cvt_f16_f32_e32 v7, v7
	s_waitcnt lgkmcnt(0)
	s_barrier
	v_accvgpr_read_b32 v8, a206
	ds_write_b16 v1, v7
	v_accvgpr_read_b32 v7, a205
	v_cvt_f16_f32_e32 v7, v7
	v_cvt_f16_f32_e32 v8, v8
	v_accvgpr_read_b32 v9, a207
	v_cvt_f16_f32_e32 v9, v9
	ds_write_b16 v1, v7 offset:128
	v_accvgpr_read_b32 v7, a203
	ds_write_b16 v1, v8 offset:256
	ds_write_b16 v1, v9 offset:384
	v_cvt_f16_f32_e32 v7, v7
	v_accvgpr_read_b32 v8, a202
	v_cvt_f16_f32_e32 v8, v8
	v_accvgpr_read_b32 v9, a201
	;; [unrolled: 2-line block ×3, first 2 shown]
	v_cvt_f16_f32_e32 v11, v11
	v_or_b32_e32 v10, 0x80, v6
	ds_write_b16 v1, v7 offset:448
	ds_write_b16 v1, v8 offset:320
	;; [unrolled: 1-line block ×4, first 2 shown]
	s_waitcnt lgkmcnt(0)
	s_barrier
	ds_read_b64 v[8:9], v2
	v_cmp_gt_i32_e64 s[6:7], s21, v10
	s_and_b64 s[8:9], s[14:15], s[6:7]
	v_mfma_f32_16x16x128_f8f6f4 a[196:199], v[158:165], v[62:69], a[196:199]
	v_cndmask_b32_e64 v7, v4, 0, s[8:9]
	v_add_u32_e32 v7, v5, v7
	s_waitcnt lgkmcnt(0)
	buffer_atomic_pk_add_f16 v8, v7, s[28:31], 0 offen offset:256
	buffer_atomic_pk_add_f16 v9, v7, s[28:31], 4 offen offset:256
	v_or_b32_e32 v7, 0x84, v6
	ds_read_b64 v[8:9], v2 offset:8
	v_cmp_gt_i32_e64 s[8:9], s21, v7
	s_and_b64 s[10:11], s[14:15], s[8:9]
	v_cndmask_b32_e64 v7, v4, 0, s[10:11]
	v_mfma_f32_16x16x128_f8f6f4 a[192:195], v[158:165], v[24:31], a[192:195]
	v_add_u32_e32 v7, v5, v7
	s_waitcnt lgkmcnt(0)
	buffer_atomic_pk_add_f16 v8, v7, s[28:31], 0 offen offset:264
	buffer_atomic_pk_add_f16 v9, v7, s[28:31], 4 offen offset:264
	v_accvgpr_read_b32 v8, a196
	v_cvt_f16_f32_e32 v8, v8
	v_accvgpr_read_b32 v9, a197
	v_cvt_f16_f32_e32 v9, v9
	s_waitcnt lgkmcnt(0)
	s_barrier
	ds_write_b16 v1, v8
	ds_write_b16 v1, v9 offset:128
	v_accvgpr_read_b32 v8, a198
	v_cvt_f16_f32_e32 v8, v8
	v_accvgpr_read_b32 v9, a199
	v_cvt_f16_f32_e32 v9, v9
	;; [unrolled: 2-line block ×3, first 2 shown]
	ds_write_b16 v1, v8 offset:256
	ds_write_b16 v1, v9 offset:384
	v_accvgpr_read_b32 v8, a194
	v_cvt_f16_f32_e32 v8, v8
	v_accvgpr_read_b32 v9, a193
	ds_write_b16 v1, v11 offset:448
	v_cvt_f16_f32_e32 v9, v9
	v_accvgpr_read_b32 v11, a192
	v_cvt_f16_f32_e32 v11, v11
	v_or_b32_e32 v7, 0xc0, v6
	ds_write_b16 v1, v8 offset:320
	ds_write_b16 v1, v9 offset:192
	;; [unrolled: 1-line block ×3, first 2 shown]
	s_waitcnt lgkmcnt(0)
	s_barrier
	ds_read_b64 v[8:9], v2
	v_cmp_gt_i32_e64 s[10:11], s21, v7
	s_and_b64 s[12:13], s[14:15], s[10:11]
	v_mfma_f32_16x16x128_f8f6f4 a[208:211], v[150:157], v[62:69], a[164:167]
	v_add_u32_e32 v10, 0xc0, v0
	v_cndmask_b32_e64 v7, v4, 0, s[12:13]
	v_lshl_add_u32 v7, v10, 1, v7
	s_waitcnt lgkmcnt(0)
	buffer_atomic_pk_add_f16 v8, v7, s[28:31], 0 offen
	buffer_atomic_pk_add_f16 v9, v7, s[28:31], 4 offen
	v_or_b32_e32 v8, 0xc4, v6
	ds_read_b64 v[6:7], v2 offset:8
	v_cmp_gt_i32_e64 s[12:13], s21, v8
	s_and_b64 s[14:15], s[14:15], s[12:13]
	v_cndmask_b32_e64 v8, v4, 0, s[14:15]
	v_add_u32_e32 v5, v5, v8
	s_waitcnt lgkmcnt(0)
	buffer_atomic_pk_add_f16 v6, v5, s[28:31], 0 offen offset:392
	buffer_atomic_pk_add_f16 v7, v5, s[28:31], 4 offen offset:392
	v_accvgpr_read_b32 v6, a208
	v_cvt_f16_f32_e32 v6, v6
	v_mfma_f32_16x16x128_f8f6f4 a[212:215], v[150:157], v[24:31], a[160:163]
	s_waitcnt lgkmcnt(0)
	s_barrier
	ds_write_b16 v1, v6
	v_accvgpr_read_b32 v6, a209
	v_cvt_f16_f32_e32 v6, v6
	v_accvgpr_read_b32 v7, a210
	v_cvt_f16_f32_e32 v7, v7
	;; [unrolled: 2-line block ×3, first 2 shown]
	ds_write_b16 v1, v6 offset:128
	ds_write_b16 v1, v7 offset:256
	v_add_u32_e32 v5, 32, v3
	v_accvgpr_read_b32 v6, a215
	v_cvt_f16_f32_e32 v6, v6
	v_accvgpr_read_b32 v7, a214
	ds_write_b16 v1, v8 offset:384
	v_cvt_f16_f32_e32 v7, v7
	v_accvgpr_read_b32 v8, a213
	v_cvt_f16_f32_e32 v8, v8
	v_accvgpr_read_b32 v9, a212
	v_cvt_f16_f32_e32 v9, v9
	ds_write_b16 v1, v6 offset:448
	ds_write_b16 v1, v7 offset:320
	;; [unrolled: 1-line block ×4, first 2 shown]
	s_waitcnt lgkmcnt(0)
	s_barrier
	ds_read_b64 v[6:7], v2
	v_cmp_gt_i32_e64 s[14:15], s20, v5
	s_lshl_b32 s18, s25, 5
	s_and_b64 s[16:17], s[14:15], s[10:11]
	v_mfma_f32_16x16x128_f8f6f4 a[172:175], v[150:157], v[78:85], a[172:175]
	v_add_lshl_u32 v16, v10, s18, 1
	v_cndmask_b32_e64 v5, v4, 0, s[16:17]
	v_add_u32_e32 v5, v16, v5
	s_waitcnt lgkmcnt(0)
	buffer_atomic_pk_add_f16 v6, v5, s[28:31], 0 offen
	buffer_atomic_pk_add_f16 v7, v5, s[28:31], 4 offen
	ds_read_b64 v[6:7], v2 offset:8
	v_mov_b32_e32 v5, 0x80000008
	s_and_b64 s[16:17], s[14:15], s[12:13]
	v_cndmask_b32_e64 v8, v5, 8, s[16:17]
	v_add_u32_e32 v8, v16, v8
	s_waitcnt lgkmcnt(0)
	buffer_atomic_pk_add_f16 v6, v8, s[28:31], 0 offen
	v_mfma_f32_16x16x128_f8f6f4 a[168:171], v[150:157], v[70:77], a[168:171]
	v_accvgpr_read_b32 v6, a172
	v_cvt_f16_f32_e32 v6, v6
	buffer_atomic_pk_add_f16 v7, v8, s[28:31], 4 offen
	s_waitcnt lgkmcnt(0)
	s_barrier
	ds_write_b16 v1, v6
	v_accvgpr_read_b32 v6, a173
	v_cvt_f16_f32_e32 v6, v6
	v_accvgpr_read_b32 v7, a174
	v_cvt_f16_f32_e32 v7, v7
	v_accvgpr_read_b32 v8, a175
	v_cvt_f16_f32_e32 v8, v8
	ds_write_b16 v1, v6 offset:128
	v_accvgpr_read_b32 v6, a171
	ds_write_b16 v1, v7 offset:256
	ds_write_b16 v1, v8 offset:384
	v_cvt_f16_f32_e32 v6, v6
	v_accvgpr_read_b32 v7, a170
	v_cvt_f16_f32_e32 v7, v7
	v_accvgpr_read_b32 v8, a169
	;; [unrolled: 2-line block ×3, first 2 shown]
	v_cvt_f16_f32_e32 v9, v9
	ds_write_b16 v1, v6 offset:448
	ds_write_b16 v1, v7 offset:320
	;; [unrolled: 1-line block ×4, first 2 shown]
	s_waitcnt lgkmcnt(0)
	s_barrier
	ds_read_b64 v[8:9], v2
	v_mov_b32_e32 v6, 0x7fffff80
	v_mov_b32_e32 v7, 0xffffff80
	s_and_b64 s[16:17], s[14:15], s[6:7]
	v_mfma_f32_16x16x128_f8f6f4 a[180:183], v[150:157], v[94:101], a[180:183]
	v_cndmask_b32_e64 v10, v6, v7, s[16:17]
	v_add_u32_e32 v10, v16, v10
	s_waitcnt lgkmcnt(0)
	buffer_atomic_pk_add_f16 v8, v10, s[28:31], 0 offen
	buffer_atomic_pk_add_f16 v9, v10, s[28:31], 4 offen
	ds_read_b64 v[10:11], v2 offset:8
	v_mov_b32_e32 v8, 0x7fffff88
	v_mov_b32_e32 v9, 0xffffff88
	s_and_b64 s[16:17], s[14:15], s[8:9]
	v_mfma_f32_16x16x128_f8f6f4 a[176:179], v[150:157], v[86:93], a[176:179]
	v_cndmask_b32_e64 v12, v8, v9, s[16:17]
	v_add_u32_e32 v12, v16, v12
	s_waitcnt lgkmcnt(0)
	buffer_atomic_pk_add_f16 v10, v12, s[28:31], 0 offen
	buffer_atomic_pk_add_f16 v11, v12, s[28:31], 4 offen
	v_accvgpr_read_b32 v10, a180
	v_cvt_f16_f32_e32 v10, v10
	v_accvgpr_read_b32 v11, a181
	v_cvt_f16_f32_e32 v11, v11
	;; [unrolled: 2-line block ×4, first 2 shown]
	s_waitcnt lgkmcnt(0)
	s_barrier
	ds_write_b16 v1, v10
	ds_write_b16 v1, v11 offset:128
	ds_write_b16 v1, v12 offset:256
	;; [unrolled: 1-line block ×3, first 2 shown]
	v_accvgpr_read_b32 v10, a179
	v_cvt_f16_f32_e32 v10, v10
	v_accvgpr_read_b32 v11, a178
	v_cvt_f16_f32_e32 v11, v11
	;; [unrolled: 2-line block ×4, first 2 shown]
	ds_write_b16 v1, v10 offset:448
	ds_write_b16 v1, v11 offset:320
	;; [unrolled: 1-line block ×4, first 2 shown]
	s_waitcnt lgkmcnt(0)
	s_barrier
	ds_read_b64 v[12:13], v2
	v_mov_b32_e32 v10, 0x7fffff00
	v_mov_b32_e32 v11, 0xffffff00
	s_and_b64 s[16:17], s[14:15], s[2:3]
	v_mfma_f32_16x16x128_f8f6f4 a[188:191], v[150:157], v[110:117], a[188:191]
	v_cndmask_b32_e64 v14, v10, v11, s[16:17]
	v_add_u32_e32 v14, v16, v14
	s_waitcnt lgkmcnt(0)
	buffer_atomic_pk_add_f16 v12, v14, s[28:31], 0 offen
	buffer_atomic_pk_add_f16 v13, v14, s[28:31], 4 offen
	ds_read_b64 v[14:15], v2 offset:8
	v_mov_b32_e32 v12, 0x7fffff08
	v_mov_b32_e32 v13, 0xffffff08
	s_and_b64 s[16:17], s[14:15], s[4:5]
	v_mfma_f32_16x16x128_f8f6f4 a[184:187], v[150:157], v[102:109], a[184:187]
	v_cndmask_b32_e64 v17, v12, v13, s[16:17]
	v_add_u32_e32 v16, v16, v17
	s_waitcnt lgkmcnt(0)
	buffer_atomic_pk_add_f16 v14, v16, s[28:31], 0 offen
	buffer_atomic_pk_add_f16 v15, v16, s[28:31], 4 offen
	v_accvgpr_read_b32 v14, a188
	v_cvt_f16_f32_e32 v14, v14
	v_accvgpr_read_b32 v15, a189
	v_cvt_f16_f32_e32 v15, v15
	;; [unrolled: 2-line block ×4, first 2 shown]
	s_waitcnt lgkmcnt(0)
	s_barrier
	ds_write_b16 v1, v14
	ds_write_b16 v1, v15 offset:128
	ds_write_b16 v1, v16 offset:256
	;; [unrolled: 1-line block ×3, first 2 shown]
	v_accvgpr_read_b32 v14, a187
	v_cvt_f16_f32_e32 v14, v14
	v_accvgpr_read_b32 v15, a186
	v_cvt_f16_f32_e32 v15, v15
	;; [unrolled: 2-line block ×4, first 2 shown]
	ds_write_b16 v1, v14 offset:448
	ds_write_b16 v1, v15 offset:320
	;; [unrolled: 1-line block ×4, first 2 shown]
	s_waitcnt lgkmcnt(0)
	s_barrier
	ds_read_b64 v[14:15], v2
	v_mfma_f32_16x16x128_f8f6f4 a[164:167], v[142:149], v[110:117], a[156:159]
	v_add_u32_e32 v0, s18, v0
	s_and_b64 s[16:17], vcc, s[14:15]
	v_lshlrev_b32_e32 v16, 1, v0
	v_cndmask_b32_e64 v17, v4, 0, s[16:17]
	v_add_u32_e32 v17, v17, v16
	s_waitcnt lgkmcnt(0)
	buffer_atomic_pk_add_f16 v14, v17, s[28:31], 0 offen
	buffer_atomic_pk_add_f16 v15, v17, s[28:31], 4 offen
	ds_read_b64 v[14:15], v2 offset:8
	v_mfma_f32_16x16x128_f8f6f4 a[160:163], v[142:149], v[102:109], a[152:155]
	s_and_b64 s[14:15], s[14:15], s[0:1]
	v_cndmask_b32_e64 v17, v4, 0, s[14:15]
	v_add_u32_e32 v16, v16, v17
	s_waitcnt vmcnt(43)
	v_add_u32_e32 v34, s18, v0
	v_accvgpr_read_b32 v0, a164
	s_waitcnt lgkmcnt(0)
	buffer_atomic_pk_add_f16 v14, v16, s[28:31], 0 offen offset:8
	buffer_atomic_pk_add_f16 v15, v16, s[28:31], 4 offen offset:8
	v_cvt_f16_f32_e32 v0, v0
	v_accvgpr_read_b32 v14, a165
	v_cvt_f16_f32_e32 v14, v14
	v_accvgpr_read_b32 v15, a166
	;; [unrolled: 2-line block ×3, first 2 shown]
	v_cvt_f16_f32_e32 v17, v17
	s_waitcnt lgkmcnt(0)
	s_barrier
	ds_write_b16 v1, v0
	ds_write_b16 v1, v14 offset:128
	ds_write_b16 v1, v15 offset:256
	;; [unrolled: 1-line block ×3, first 2 shown]
	v_accvgpr_read_b32 v0, a163
	v_cvt_f16_f32_e32 v0, v0
	v_accvgpr_read_b32 v14, a162
	v_cvt_f16_f32_e32 v14, v14
	;; [unrolled: 2-line block ×4, first 2 shown]
	v_add_u32_e32 v16, 64, v3
	ds_write_b16 v1, v0 offset:448
	ds_write_b16 v1, v14 offset:320
	;; [unrolled: 1-line block ×4, first 2 shown]
	s_waitcnt lgkmcnt(0)
	s_barrier
	ds_read_b64 v[14:15], v2
	v_cmp_gt_i32_e64 s[14:15], s20, v16
	s_and_b64 s[16:17], vcc, s[14:15]
	v_mfma_f32_16x16x128_f8f6f4 a[156:159], v[142:149], v[94:101], a[148:151]
	v_lshlrev_b32_e32 v35, 1, v34
	v_cndmask_b32_e64 v0, v4, 0, s[16:17]
	v_add_u32_e32 v0, v35, v0
	s_waitcnt lgkmcnt(0)
	buffer_atomic_pk_add_f16 v14, v0, s[28:31], 0 offen
	buffer_atomic_pk_add_f16 v15, v0, s[28:31], 4 offen
	ds_read_b64 v[14:15], v2 offset:8
	s_and_b64 s[16:17], s[14:15], s[0:1]
	v_cndmask_b32_e64 v0, v5, 8, s[16:17]
	v_mfma_f32_16x16x128_f8f6f4 a[152:155], v[142:149], v[86:93], a[144:147]
	v_add_u32_e32 v0, v35, v0
	s_waitcnt lgkmcnt(0)
	buffer_atomic_pk_add_f16 v14, v0, s[28:31], 0 offen
	buffer_atomic_pk_add_f16 v15, v0, s[28:31], 4 offen
	v_accvgpr_read_b32 v0, a156
	v_cvt_f16_f32_e32 v0, v0
	v_accvgpr_read_b32 v14, a157
	v_cvt_f16_f32_e32 v14, v14
	;; [unrolled: 2-line block ×4, first 2 shown]
	s_waitcnt lgkmcnt(0)
	s_barrier
	ds_write_b16 v1, v0
	ds_write_b16 v1, v14 offset:128
	ds_write_b16 v1, v15 offset:256
	;; [unrolled: 1-line block ×3, first 2 shown]
	v_accvgpr_read_b32 v0, a155
	v_cvt_f16_f32_e32 v0, v0
	v_accvgpr_read_b32 v14, a154
	v_cvt_f16_f32_e32 v14, v14
	;; [unrolled: 2-line block ×4, first 2 shown]
	ds_write_b16 v1, v0 offset:448
	ds_write_b16 v1, v14 offset:320
	;; [unrolled: 1-line block ×4, first 2 shown]
	s_waitcnt lgkmcnt(0)
	s_barrier
	ds_read_b64 v[16:17], v2
	v_mov_b32_e32 v0, 0x80000080
	v_mov_b32_e32 v14, 0x80
	s_and_b64 s[16:17], s[14:15], s[2:3]
	v_mfma_f32_16x16x128_f8f6f4 a[148:151], v[142:149], v[78:85], a[140:143]
	v_cndmask_b32_e64 v15, v0, v14, s[16:17]
	v_add_u32_e32 v15, v35, v15
	s_waitcnt lgkmcnt(0)
	buffer_atomic_pk_add_f16 v16, v15, s[28:31], 0 offen
	buffer_atomic_pk_add_f16 v17, v15, s[28:31], 4 offen
	ds_read_b64 v[18:19], v2 offset:8
	v_mov_b32_e32 v15, 0x80000088
	v_mov_b32_e32 v16, 0x88
	s_and_b64 s[16:17], s[14:15], s[4:5]
	v_mfma_f32_16x16x128_f8f6f4 a[144:147], v[142:149], v[70:77], a[132:135]
	v_cndmask_b32_e64 v17, v15, v16, s[16:17]
	v_add_u32_e32 v17, v35, v17
	s_waitcnt lgkmcnt(0)
	buffer_atomic_pk_add_f16 v18, v17, s[28:31], 0 offen
	buffer_atomic_pk_add_f16 v19, v17, s[28:31], 4 offen
	v_accvgpr_read_b32 v17, a148
	v_cvt_f16_f32_e32 v17, v17
	v_accvgpr_read_b32 v18, a149
	v_cvt_f16_f32_e32 v18, v18
	;; [unrolled: 2-line block ×4, first 2 shown]
	s_waitcnt lgkmcnt(0)
	s_barrier
	ds_write_b16 v1, v17
	ds_write_b16 v1, v18 offset:128
	ds_write_b16 v1, v19 offset:256
	;; [unrolled: 1-line block ×3, first 2 shown]
	v_accvgpr_read_b32 v17, a147
	v_cvt_f16_f32_e32 v17, v17
	v_accvgpr_read_b32 v18, a146
	v_cvt_f16_f32_e32 v18, v18
	;; [unrolled: 2-line block ×4, first 2 shown]
	ds_write_b16 v1, v17 offset:448
	ds_write_b16 v1, v18 offset:320
	;; [unrolled: 1-line block ×4, first 2 shown]
	s_waitcnt lgkmcnt(0)
	s_barrier
	ds_read_b64 v[20:21], v2
	v_mov_b32_e32 v17, 0x80000100
	v_mov_b32_e32 v18, 0x100
	s_and_b64 s[16:17], s[14:15], s[6:7]
	v_mfma_f32_16x16x128_f8f6f4 a[132:135], v[142:149], v[62:69], a[128:131]
	v_cndmask_b32_e64 v19, v17, v18, s[16:17]
	v_add_u32_e32 v19, v35, v19
	s_waitcnt lgkmcnt(0)
	buffer_atomic_pk_add_f16 v20, v19, s[28:31], 0 offen
	buffer_atomic_pk_add_f16 v21, v19, s[28:31], 4 offen
	ds_read_b64 v[22:23], v2 offset:8
	v_mov_b32_e32 v19, 0x80000108
	v_mov_b32_e32 v20, 0x108
	s_and_b64 s[16:17], s[14:15], s[8:9]
	v_mfma_f32_16x16x128_f8f6f4 a[128:131], v[142:149], v[24:31], a[124:127]
	v_cndmask_b32_e64 v21, v19, v20, s[16:17]
	v_add_u32_e32 v21, v35, v21
	s_waitcnt lgkmcnt(0)
	buffer_atomic_pk_add_f16 v22, v21, s[28:31], 0 offen
	buffer_atomic_pk_add_f16 v23, v21, s[28:31], 4 offen
	v_accvgpr_read_b32 v21, a132
	v_cvt_f16_f32_e32 v21, v21
	v_accvgpr_read_b32 v22, a133
	v_cvt_f16_f32_e32 v22, v22
	;; [unrolled: 2-line block ×4, first 2 shown]
	s_waitcnt lgkmcnt(0)
	s_barrier
	ds_write_b16 v1, v21
	ds_write_b16 v1, v22 offset:128
	ds_write_b16 v1, v23 offset:256
	;; [unrolled: 1-line block ×3, first 2 shown]
	v_accvgpr_read_b32 v21, a131
	v_cvt_f16_f32_e32 v21, v21
	v_accvgpr_read_b32 v22, a130
	v_cvt_f16_f32_e32 v22, v22
	;; [unrolled: 2-line block ×4, first 2 shown]
	ds_write_b16 v1, v21 offset:448
	ds_write_b16 v1, v22 offset:320
	;; [unrolled: 1-line block ×4, first 2 shown]
	s_waitcnt lgkmcnt(0)
	s_barrier
	ds_read_b64 v[22:23], v2
	s_and_b64 s[16:17], s[14:15], s[10:11]
	v_mfma_f32_16x16x128_f8f6f4 a[140:143], v[134:141], v[62:69], a[92:95]
	v_add_u32_e32 v36, 0xc0, v34
	v_cndmask_b32_e64 v21, v4, 0, s[16:17]
	v_lshl_add_u32 v21, v36, 1, v21
	s_waitcnt lgkmcnt(0)
	buffer_atomic_pk_add_f16 v22, v21, s[28:31], 0 offen
	buffer_atomic_pk_add_f16 v23, v21, s[28:31], 4 offen
	ds_read_b64 v[32:33], v2 offset:8
	v_mov_b32_e32 v21, 0x80000188
	v_mov_b32_e32 v22, 0x188
	v_mfma_f32_16x16x128_f8f6f4 a[124:127], v[134:141], v[94:101], a[108:111]
	s_and_b64 s[14:15], s[14:15], s[12:13]
	v_cndmask_b32_e64 v23, v21, v22, s[14:15]
	v_add_u32_e32 v23, v35, v23
	s_waitcnt lgkmcnt(0)
	buffer_atomic_pk_add_f16 v32, v23, s[28:31], 0 offen
	buffer_atomic_pk_add_f16 v33, v23, s[28:31], 4 offen
	v_accvgpr_read_b32 v32, a140
	v_cvt_f16_f32_e32 v32, v32
	v_accvgpr_read_b32 v33, a141
	v_mfma_f32_16x16x128_f8f6f4 a[108:111], v[134:141], v[86:93], a[112:115]
	v_cvt_f16_f32_e32 v33, v33
	v_accvgpr_read_b32 v35, a142
	v_cvt_f16_f32_e32 v35, v35
	v_accvgpr_read_b32 v37, a143
	v_cvt_f16_f32_e32 v37, v37
	s_waitcnt lgkmcnt(0)
	s_barrier
	v_mfma_f32_16x16x128_f8f6f4 a[112:115], v[134:141], v[24:31], a[88:91]
	ds_write_b16 v1, v32
	ds_write_b16 v1, v33 offset:128
	ds_write_b16 v1, v35 offset:256
	;; [unrolled: 1-line block ×3, first 2 shown]
	v_add_u32_e32 v23, 0x60, v3
	v_cmp_gt_i32_e64 s[14:15], s20, v23
	s_and_b64 s[16:17], s[14:15], s[10:11]
	v_add_lshl_u32 v23, v36, s18, 1
	v_mfma_f32_16x16x128_f8f6f4 a[104:107], v[134:141], v[78:85], a[104:107]
	s_nop 2
	v_accvgpr_read_b32 v32, a115
	v_cvt_f16_f32_e32 v32, v32
	v_accvgpr_read_b32 v33, a114
	v_cvt_f16_f32_e32 v33, v33
	v_accvgpr_read_b32 v35, a113
	v_cvt_f16_f32_e32 v35, v35
	v_accvgpr_read_b32 v37, a112
	v_cvt_f16_f32_e32 v37, v37
	ds_write_b16 v1, v32 offset:448
	ds_write_b16 v1, v33 offset:320
	;; [unrolled: 1-line block ×4, first 2 shown]
	s_waitcnt lgkmcnt(0)
	s_barrier
	ds_read_b64 v[32:33], v2
	v_cndmask_b32_e64 v35, v4, 0, s[16:17]
	v_add_u32_e32 v35, v23, v35
	s_waitcnt lgkmcnt(0)
	buffer_atomic_pk_add_f16 v32, v35, s[28:31], 0 offen
	buffer_atomic_pk_add_f16 v33, v35, s[28:31], 4 offen
	ds_read_b64 v[32:33], v2 offset:8
	v_mfma_f32_16x16x128_f8f6f4 a[96:99], v[134:141], v[70:77], a[96:99]
	s_and_b64 s[16:17], s[14:15], s[12:13]
	v_cndmask_b32_e64 v35, v5, 8, s[16:17]
	v_add_u32_e32 v35, v23, v35
	s_waitcnt lgkmcnt(0)
	buffer_atomic_pk_add_f16 v32, v35, s[28:31], 0 offen
	buffer_atomic_pk_add_f16 v33, v35, s[28:31], 4 offen
	v_accvgpr_read_b32 v32, a104
	v_cvt_f16_f32_e32 v32, v32
	v_accvgpr_read_b32 v33, a105
	v_cvt_f16_f32_e32 v33, v33
	;; [unrolled: 2-line block ×4, first 2 shown]
	s_waitcnt lgkmcnt(0)
	s_barrier
	ds_write_b16 v1, v32
	ds_write_b16 v1, v33 offset:128
	ds_write_b16 v1, v35 offset:256
	;; [unrolled: 1-line block ×3, first 2 shown]
	v_accvgpr_read_b32 v32, a99
	v_cvt_f16_f32_e32 v32, v32
	v_accvgpr_read_b32 v33, a98
	v_cvt_f16_f32_e32 v33, v33
	;; [unrolled: 2-line block ×4, first 2 shown]
	ds_write_b16 v1, v32 offset:448
	ds_write_b16 v1, v33 offset:320
	;; [unrolled: 1-line block ×4, first 2 shown]
	s_waitcnt lgkmcnt(0)
	s_barrier
	ds_read_b64 v[32:33], v2
	s_and_b64 s[16:17], s[14:15], s[6:7]
	v_cndmask_b32_e64 v35, v6, v7, s[16:17]
	v_add_u32_e32 v35, v23, v35
	s_waitcnt lgkmcnt(0)
	buffer_atomic_pk_add_f16 v32, v35, s[28:31], 0 offen
	buffer_atomic_pk_add_f16 v33, v35, s[28:31], 4 offen
	ds_read_b64 v[32:33], v2 offset:8
	s_and_b64 s[16:17], s[14:15], s[8:9]
	v_cndmask_b32_e64 v35, v8, v9, s[16:17]
	v_add_u32_e32 v35, v23, v35
	s_waitcnt lgkmcnt(0)
	buffer_atomic_pk_add_f16 v32, v35, s[28:31], 0 offen
	buffer_atomic_pk_add_f16 v33, v35, s[28:31], 4 offen
	v_accvgpr_read_b32 v32, a124
	v_cvt_f16_f32_e32 v32, v32
	v_accvgpr_read_b32 v33, a125
	v_cvt_f16_f32_e32 v33, v33
	;; [unrolled: 2-line block ×4, first 2 shown]
	s_waitcnt lgkmcnt(0)
	s_barrier
	ds_write_b16 v1, v32
	ds_write_b16 v1, v33 offset:128
	ds_write_b16 v1, v35 offset:256
	;; [unrolled: 1-line block ×3, first 2 shown]
	v_accvgpr_read_b32 v32, a111
	v_cvt_f16_f32_e32 v32, v32
	v_accvgpr_read_b32 v33, a110
	v_cvt_f16_f32_e32 v33, v33
	;; [unrolled: 2-line block ×4, first 2 shown]
	ds_write_b16 v1, v32 offset:448
	ds_write_b16 v1, v33 offset:320
	;; [unrolled: 1-line block ×4, first 2 shown]
	s_waitcnt lgkmcnt(0)
	s_barrier
	ds_read_b64 v[32:33], v2
	s_and_b64 s[16:17], s[14:15], s[2:3]
	v_mfma_f32_16x16x128_f8f6f4 a[120:123], v[134:141], v[110:117], a[120:123]
	v_cndmask_b32_e64 v35, v10, v11, s[16:17]
	v_add_u32_e32 v35, v23, v35
	s_waitcnt lgkmcnt(0)
	buffer_atomic_pk_add_f16 v32, v35, s[28:31], 0 offen
	buffer_atomic_pk_add_f16 v33, v35, s[28:31], 4 offen
	ds_read_b64 v[32:33], v2 offset:8
	s_and_b64 s[16:17], s[14:15], s[4:5]
	v_cndmask_b32_e64 v35, v12, v13, s[16:17]
	v_add_u32_e32 v23, v23, v35
	v_mfma_f32_16x16x128_f8f6f4 a[116:119], v[134:141], v[102:109], a[116:119]
	s_waitcnt lgkmcnt(0)
	buffer_atomic_pk_add_f16 v32, v23, s[28:31], 0 offen
	buffer_atomic_pk_add_f16 v33, v23, s[28:31], 4 offen
	v_add_u32_e32 v23, s18, v34
	v_accvgpr_read_b32 v32, a120
	v_cvt_f16_f32_e32 v32, v32
	v_accvgpr_read_b32 v33, a121
	v_cvt_f16_f32_e32 v33, v33
	;; [unrolled: 2-line block ×4, first 2 shown]
	s_waitcnt lgkmcnt(0)
	s_barrier
	ds_write_b16 v1, v32
	ds_write_b16 v1, v33 offset:128
	ds_write_b16 v1, v34 offset:256
	;; [unrolled: 1-line block ×3, first 2 shown]
	v_accvgpr_read_b32 v32, a119
	v_cvt_f16_f32_e32 v32, v32
	v_accvgpr_read_b32 v33, a118
	v_cvt_f16_f32_e32 v33, v33
	;; [unrolled: 2-line block ×4, first 2 shown]
	ds_write_b16 v1, v32 offset:448
	ds_write_b16 v1, v33 offset:320
	;; [unrolled: 1-line block ×4, first 2 shown]
	s_waitcnt lgkmcnt(0)
	s_barrier
	ds_read_b64 v[32:33], v2
	s_and_b64 s[16:17], vcc, s[14:15]
	v_mfma_f32_16x16x128_f8f6f4 a[92:95], v[126:133], v[110:117], a[84:87]
	v_lshlrev_b32_e32 v34, 1, v23
	v_cndmask_b32_e64 v35, v4, 0, s[16:17]
	v_add_u32_e32 v35, v34, v35
	s_waitcnt lgkmcnt(0)
	buffer_atomic_pk_add_f16 v32, v35, s[28:31], 0 offen
	buffer_atomic_pk_add_f16 v33, v35, s[28:31], 4 offen
	ds_read_b64 v[32:33], v2 offset:8
	s_and_b64 s[14:15], s[14:15], s[0:1]
	v_cndmask_b32_e64 v35, v5, 8, s[14:15]
	v_mfma_f32_16x16x128_f8f6f4 a[88:91], v[126:133], v[102:109], a[80:83]
	v_add_u32_e32 v34, v34, v35
	s_waitcnt lgkmcnt(0)
	buffer_atomic_pk_add_f16 v32, v34, s[28:31], 0 offen
	buffer_atomic_pk_add_f16 v33, v34, s[28:31], 4 offen
	v_accvgpr_read_b32 v32, a92
	v_cvt_f16_f32_e32 v32, v32
	v_accvgpr_read_b32 v33, a93
	v_cvt_f16_f32_e32 v33, v33
	;; [unrolled: 2-line block ×4, first 2 shown]
	s_waitcnt lgkmcnt(0)
	s_barrier
	ds_write_b16 v1, v32
	ds_write_b16 v1, v33 offset:128
	ds_write_b16 v1, v35 offset:256
	;; [unrolled: 1-line block ×3, first 2 shown]
	v_accvgpr_read_b32 v32, a91
	v_cvt_f16_f32_e32 v32, v32
	v_accvgpr_read_b32 v33, a90
	v_cvt_f16_f32_e32 v33, v33
	;; [unrolled: 2-line block ×4, first 2 shown]
	v_add_u32_e32 v34, 0x80, v3
	ds_write_b16 v1, v32 offset:448
	ds_write_b16 v1, v33 offset:320
	;; [unrolled: 1-line block ×4, first 2 shown]
	s_waitcnt lgkmcnt(0)
	s_barrier
	ds_read_b64 v[32:33], v2
	v_cmp_gt_i32_e64 s[14:15], s20, v34
	v_add_u32_e32 v23, s18, v23
	s_and_b64 s[16:17], vcc, s[14:15]
	v_mfma_f32_16x16x128_f8f6f4 a[84:87], v[126:133], v[94:101], a[100:103]
	v_lshlrev_b32_e32 v34, 1, v23
	v_cndmask_b32_e64 v35, v4, 0, s[16:17]
	v_add_u32_e32 v35, v34, v35
	s_waitcnt lgkmcnt(0)
	buffer_atomic_pk_add_f16 v32, v35, s[28:31], 0 offen
	buffer_atomic_pk_add_f16 v33, v35, s[28:31], 4 offen
	ds_read_b64 v[32:33], v2 offset:8
	s_and_b64 s[16:17], s[14:15], s[0:1]
	v_cndmask_b32_e64 v35, v5, 8, s[16:17]
	v_mfma_f32_16x16x128_f8f6f4 a[80:83], v[126:133], v[86:93], a[136:139]
	v_add_u32_e32 v35, v34, v35
	s_waitcnt lgkmcnt(0)
	buffer_atomic_pk_add_f16 v32, v35, s[28:31], 0 offen
	buffer_atomic_pk_add_f16 v33, v35, s[28:31], 4 offen
	v_accvgpr_read_b32 v32, a84
	v_cvt_f16_f32_e32 v32, v32
	v_accvgpr_read_b32 v33, a85
	v_cvt_f16_f32_e32 v33, v33
	;; [unrolled: 2-line block ×4, first 2 shown]
	s_waitcnt lgkmcnt(0)
	s_barrier
	ds_write_b16 v1, v32
	ds_write_b16 v1, v33 offset:128
	ds_write_b16 v1, v35 offset:256
	;; [unrolled: 1-line block ×3, first 2 shown]
	v_accvgpr_read_b32 v32, a83
	v_cvt_f16_f32_e32 v32, v32
	v_accvgpr_read_b32 v33, a82
	v_cvt_f16_f32_e32 v33, v33
	;; [unrolled: 2-line block ×4, first 2 shown]
	ds_write_b16 v1, v32 offset:448
	ds_write_b16 v1, v33 offset:320
	;; [unrolled: 1-line block ×4, first 2 shown]
	s_waitcnt lgkmcnt(0)
	s_barrier
	ds_read_b64 v[32:33], v2
	s_and_b64 s[16:17], s[14:15], s[2:3]
	v_mfma_f32_16x16x128_f8f6f4 a[76:79], v[126:133], v[78:85], a[76:79]
	v_cndmask_b32_e64 v35, v0, v14, s[16:17]
	v_add_u32_e32 v35, v34, v35
	s_waitcnt lgkmcnt(0)
	buffer_atomic_pk_add_f16 v32, v35, s[28:31], 0 offen
	buffer_atomic_pk_add_f16 v33, v35, s[28:31], 4 offen
	ds_read_b64 v[32:33], v2 offset:8
	s_and_b64 s[16:17], s[14:15], s[4:5]
	v_cndmask_b32_e64 v35, v15, v16, s[16:17]
	v_add_u32_e32 v35, v34, v35
	v_mfma_f32_16x16x128_f8f6f4 a[72:75], v[126:133], v[70:77], a[72:75]
	s_waitcnt lgkmcnt(0)
	buffer_atomic_pk_add_f16 v32, v35, s[28:31], 0 offen
	buffer_atomic_pk_add_f16 v33, v35, s[28:31], 4 offen
	s_waitcnt lgkmcnt(0)
	v_accvgpr_read_b32 v32, a76
	v_cvt_f16_f32_e32 v32, v32
	v_accvgpr_read_b32 v33, a77
	v_cvt_f16_f32_e32 v33, v33
	;; [unrolled: 2-line block ×4, first 2 shown]
	s_barrier
	ds_write_b16 v1, v32
	ds_write_b16 v1, v33 offset:128
	ds_write_b16 v1, v35 offset:256
	;; [unrolled: 1-line block ×3, first 2 shown]
	v_accvgpr_read_b32 v32, a75
	v_cvt_f16_f32_e32 v32, v32
	v_accvgpr_read_b32 v33, a74
	v_cvt_f16_f32_e32 v33, v33
	;; [unrolled: 2-line block ×4, first 2 shown]
	ds_write_b16 v1, v32 offset:448
	ds_write_b16 v1, v33 offset:320
	;; [unrolled: 1-line block ×4, first 2 shown]
	s_waitcnt lgkmcnt(0)
	s_barrier
	ds_read_b64 v[32:33], v2
	s_and_b64 s[16:17], s[14:15], s[6:7]
	v_mfma_f32_16x16x128_f8f6f4 a[68:71], v[126:133], v[62:69], a[68:71]
	v_cndmask_b32_e64 v35, v17, v18, s[16:17]
	v_add_u32_e32 v35, v34, v35
	s_waitcnt lgkmcnt(0)
	buffer_atomic_pk_add_f16 v32, v35, s[28:31], 0 offen
	buffer_atomic_pk_add_f16 v33, v35, s[28:31], 4 offen
	ds_read_b64 v[32:33], v2 offset:8
	s_and_b64 s[16:17], s[14:15], s[8:9]
	v_cndmask_b32_e64 v35, v19, v20, s[16:17]
	v_add_u32_e32 v35, v34, v35
	v_mfma_f32_16x16x128_f8f6f4 a[64:67], v[126:133], v[24:31], a[64:67]
	s_waitcnt lgkmcnt(0)
	buffer_atomic_pk_add_f16 v32, v35, s[28:31], 0 offen
	buffer_atomic_pk_add_f16 v33, v35, s[28:31], 4 offen
	s_waitcnt lgkmcnt(0)
	v_accvgpr_read_b32 v32, a68
	v_cvt_f16_f32_e32 v32, v32
	v_accvgpr_read_b32 v33, a69
	v_cvt_f16_f32_e32 v33, v33
	;; [unrolled: 2-line block ×4, first 2 shown]
	s_barrier
	ds_write_b16 v1, v32
	ds_write_b16 v1, v33 offset:128
	ds_write_b16 v1, v35 offset:256
	;; [unrolled: 1-line block ×3, first 2 shown]
	v_accvgpr_read_b32 v32, a67
	v_cvt_f16_f32_e32 v32, v32
	v_accvgpr_read_b32 v33, a66
	v_cvt_f16_f32_e32 v33, v33
	;; [unrolled: 2-line block ×4, first 2 shown]
	ds_write_b16 v1, v32 offset:448
	ds_write_b16 v1, v33 offset:320
	;; [unrolled: 1-line block ×4, first 2 shown]
	s_waitcnt lgkmcnt(0)
	s_barrier
	ds_read_b64 v[32:33], v2
	s_and_b64 s[16:17], s[14:15], s[10:11]
	v_mfma_f32_16x16x128_f8f6f4 a[36:39], v[118:125], v[62:69], a[36:39]
	v_add_u32_e32 v35, 0xc0, v23
	v_cndmask_b32_e64 v36, v4, 0, s[16:17]
	v_lshl_add_u32 v36, v35, 1, v36
	s_waitcnt lgkmcnt(0)
	buffer_atomic_pk_add_f16 v32, v36, s[28:31], 0 offen
	buffer_atomic_pk_add_f16 v33, v36, s[28:31], 4 offen
	ds_read_b64 v[32:33], v2 offset:8
	s_and_b64 s[14:15], s[14:15], s[12:13]
	v_cndmask_b32_e64 v36, v21, v22, s[14:15]
	v_mfma_f32_16x16x128_f8f6f4 a[32:35], v[118:125], v[24:31], a[32:35]
	v_add_u32_e32 v34, v34, v36
	s_waitcnt lgkmcnt(0)
	buffer_atomic_pk_add_f16 v32, v34, s[28:31], 0 offen
	buffer_atomic_pk_add_f16 v33, v34, s[28:31], 4 offen
	v_accvgpr_read_b32 v32, a36
	v_cvt_f16_f32_e32 v32, v32
	v_accvgpr_read_b32 v33, a37
	v_cvt_f16_f32_e32 v33, v33
	;; [unrolled: 2-line block ×4, first 2 shown]
	s_waitcnt lgkmcnt(0)
	s_barrier
	ds_write_b16 v1, v32
	ds_write_b16 v1, v33 offset:128
	ds_write_b16 v1, v36 offset:256
	;; [unrolled: 1-line block ×3, first 2 shown]
	v_accvgpr_read_b32 v32, a35
	v_cvt_f16_f32_e32 v32, v32
	v_accvgpr_read_b32 v33, a34
	v_cvt_f16_f32_e32 v33, v33
	;; [unrolled: 2-line block ×4, first 2 shown]
	v_add_u32_e32 v34, 0xa0, v3
	ds_write_b16 v1, v32 offset:448
	ds_write_b16 v1, v33 offset:320
	;; [unrolled: 1-line block ×4, first 2 shown]
	s_waitcnt lgkmcnt(0)
	s_barrier
	ds_read_b64 v[32:33], v2
	v_cmp_gt_i32_e64 s[14:15], s20, v34
	s_and_b64 s[16:17], s[14:15], s[10:11]
	v_mfma_f32_16x16x128_f8f6f4 a[44:47], v[118:125], v[78:85], a[44:47]
	v_add_lshl_u32 v34, v35, s18, 1
	v_cndmask_b32_e64 v35, v4, 0, s[16:17]
	v_add_u32_e32 v35, v34, v35
	s_waitcnt lgkmcnt(0)
	buffer_atomic_pk_add_f16 v32, v35, s[28:31], 0 offen
	buffer_atomic_pk_add_f16 v33, v35, s[28:31], 4 offen
	ds_read_b64 v[32:33], v2 offset:8
	s_and_b64 s[16:17], s[14:15], s[12:13]
	v_cndmask_b32_e64 v35, v5, 8, s[16:17]
	v_mfma_f32_16x16x128_f8f6f4 a[40:43], v[118:125], v[70:77], a[40:43]
	v_add_u32_e32 v35, v34, v35
	s_waitcnt lgkmcnt(0)
	buffer_atomic_pk_add_f16 v32, v35, s[28:31], 0 offen
	buffer_atomic_pk_add_f16 v33, v35, s[28:31], 4 offen
	v_accvgpr_read_b32 v32, a44
	v_cvt_f16_f32_e32 v32, v32
	v_accvgpr_read_b32 v33, a45
	v_cvt_f16_f32_e32 v33, v33
	;; [unrolled: 2-line block ×4, first 2 shown]
	s_waitcnt lgkmcnt(0)
	s_barrier
	ds_write_b16 v1, v32
	ds_write_b16 v1, v33 offset:128
	ds_write_b16 v1, v35 offset:256
	;; [unrolled: 1-line block ×3, first 2 shown]
	v_accvgpr_read_b32 v32, a43
	v_cvt_f16_f32_e32 v32, v32
	v_accvgpr_read_b32 v33, a42
	v_cvt_f16_f32_e32 v33, v33
	;; [unrolled: 2-line block ×4, first 2 shown]
	ds_write_b16 v1, v32 offset:448
	ds_write_b16 v1, v33 offset:320
	ds_write_b16 v1, v35 offset:192
	ds_write_b16 v1, v36 offset:64
	s_waitcnt lgkmcnt(0)
	s_barrier
	ds_read_b64 v[32:33], v2
	s_and_b64 s[16:17], s[14:15], s[6:7]
	v_mfma_f32_16x16x128_f8f6f4 a[52:55], v[118:125], v[94:101], a[52:55]
	v_cndmask_b32_e64 v6, v6, v7, s[16:17]
	v_add_u32_e32 v6, v34, v6
	s_waitcnt lgkmcnt(0)
	buffer_atomic_pk_add_f16 v32, v6, s[28:31], 0 offen
	buffer_atomic_pk_add_f16 v33, v6, s[28:31], 4 offen
	ds_read_b64 v[6:7], v2 offset:8
	s_and_b64 s[16:17], s[14:15], s[8:9]
	v_cndmask_b32_e64 v8, v8, v9, s[16:17]
	v_add_u32_e32 v8, v34, v8
	v_mfma_f32_16x16x128_f8f6f4 a[48:51], v[118:125], v[86:93], a[48:51]
	s_waitcnt lgkmcnt(0)
	buffer_atomic_pk_add_f16 v6, v8, s[28:31], 0 offen
	buffer_atomic_pk_add_f16 v7, v8, s[28:31], 4 offen
	s_waitcnt lgkmcnt(0)
	v_accvgpr_read_b32 v6, a52
	v_cvt_f16_f32_e32 v6, v6
	v_accvgpr_read_b32 v7, a53
	v_cvt_f16_f32_e32 v7, v7
	;; [unrolled: 2-line block ×4, first 2 shown]
	s_barrier
	ds_write_b16 v1, v6
	ds_write_b16 v1, v7 offset:128
	ds_write_b16 v1, v8 offset:256
	;; [unrolled: 1-line block ×3, first 2 shown]
	v_accvgpr_read_b32 v6, a51
	v_cvt_f16_f32_e32 v6, v6
	v_accvgpr_read_b32 v7, a50
	v_cvt_f16_f32_e32 v7, v7
	;; [unrolled: 2-line block ×4, first 2 shown]
	ds_write_b16 v1, v6 offset:448
	ds_write_b16 v1, v7 offset:320
	;; [unrolled: 1-line block ×4, first 2 shown]
	s_waitcnt lgkmcnt(0)
	s_barrier
	ds_read_b64 v[6:7], v2
	s_and_b64 s[16:17], s[14:15], s[2:3]
	v_mfma_f32_16x16x128_f8f6f4 a[60:63], v[118:125], v[110:117], a[60:63]
	v_cndmask_b32_e64 v8, v10, v11, s[16:17]
	v_add_u32_e32 v8, v34, v8
	s_waitcnt lgkmcnt(0)
	buffer_atomic_pk_add_f16 v6, v8, s[28:31], 0 offen
	buffer_atomic_pk_add_f16 v7, v8, s[28:31], 4 offen
	ds_read_b64 v[6:7], v2 offset:8
	s_and_b64 s[16:17], s[14:15], s[4:5]
	v_cndmask_b32_e64 v8, v12, v13, s[16:17]
	v_add_u32_e32 v8, v34, v8
	v_mfma_f32_16x16x128_f8f6f4 a[56:59], v[118:125], v[102:109], a[56:59]
	s_waitcnt lgkmcnt(0)
	buffer_atomic_pk_add_f16 v6, v8, s[28:31], 0 offen
	buffer_atomic_pk_add_f16 v7, v8, s[28:31], 4 offen
	s_waitcnt lgkmcnt(0)
	v_accvgpr_read_b32 v6, a60
	v_cvt_f16_f32_e32 v6, v6
	v_accvgpr_read_b32 v7, a61
	v_cvt_f16_f32_e32 v7, v7
	;; [unrolled: 2-line block ×4, first 2 shown]
	s_barrier
	ds_write_b16 v1, v6
	ds_write_b16 v1, v7 offset:128
	ds_write_b16 v1, v8 offset:256
	;; [unrolled: 1-line block ×3, first 2 shown]
	v_accvgpr_read_b32 v6, a59
	v_cvt_f16_f32_e32 v6, v6
	v_accvgpr_read_b32 v7, a58
	v_cvt_f16_f32_e32 v7, v7
	;; [unrolled: 2-line block ×4, first 2 shown]
	ds_write_b16 v1, v6 offset:448
	ds_write_b16 v1, v7 offset:320
	;; [unrolled: 1-line block ×4, first 2 shown]
	s_waitcnt lgkmcnt(0)
	s_barrier
	ds_read_b64 v[6:7], v2
	s_and_b64 s[16:17], vcc, s[14:15]
	v_mfma_f32_16x16x128_f8f6f4 a[28:31], v[54:61], v[110:117], a[28:31]
	v_add_lshl_u32 v8, v23, s18, 1
	v_cndmask_b32_e64 v9, v4, 0, s[16:17]
	v_add_u32_e32 v9, v8, v9
	s_waitcnt lgkmcnt(0)
	buffer_atomic_pk_add_f16 v6, v9, s[28:31], 0 offen
	buffer_atomic_pk_add_f16 v7, v9, s[28:31], 4 offen
	ds_read_b64 v[6:7], v2 offset:8
	s_and_b64 s[14:15], s[14:15], s[0:1]
	v_cndmask_b32_e64 v9, v5, 8, s[14:15]
	v_mfma_f32_16x16x128_f8f6f4 a[24:27], v[54:61], v[102:109], a[24:27]
	v_add_u32_e32 v9, v8, v9
	s_waitcnt lgkmcnt(0)
	buffer_atomic_pk_add_f16 v6, v9, s[28:31], 0 offen
	buffer_atomic_pk_add_f16 v7, v9, s[28:31], 4 offen
	v_accvgpr_read_b32 v6, a28
	v_cvt_f16_f32_e32 v6, v6
	v_accvgpr_read_b32 v7, a29
	v_cvt_f16_f32_e32 v7, v7
	v_accvgpr_read_b32 v9, a30
	v_cvt_f16_f32_e32 v9, v9
	v_accvgpr_read_b32 v10, a31
	v_cvt_f16_f32_e32 v10, v10
	s_waitcnt lgkmcnt(0)
	s_barrier
	ds_write_b16 v1, v6
	ds_write_b16 v1, v7 offset:128
	ds_write_b16 v1, v9 offset:256
	;; [unrolled: 1-line block ×3, first 2 shown]
	v_accvgpr_read_b32 v6, a27
	v_cvt_f16_f32_e32 v6, v6
	v_accvgpr_read_b32 v7, a26
	v_cvt_f16_f32_e32 v7, v7
	;; [unrolled: 2-line block ×4, first 2 shown]
	v_add_u32_e32 v3, 0xc0, v3
	ds_write_b16 v1, v6 offset:448
	ds_write_b16 v1, v7 offset:320
	;; [unrolled: 1-line block ×4, first 2 shown]
	s_waitcnt lgkmcnt(0)
	s_barrier
	ds_read_b64 v[6:7], v2
	v_cmp_gt_i32_e64 s[14:15], s20, v3
	s_and_b64 s[16:17], vcc, s[14:15]
	v_mfma_f32_16x16x128_f8f6f4 a[20:23], v[54:61], v[94:101], a[20:23]
	v_lshl_add_u32 v3, s25, 6, v8
	v_cndmask_b32_e64 v4, v4, 0, s[16:17]
	v_add_u32_e32 v4, v3, v4
	s_waitcnt lgkmcnt(0)
	buffer_atomic_pk_add_f16 v6, v4, s[28:31], 0 offen
	buffer_atomic_pk_add_f16 v7, v4, s[28:31], 4 offen
	ds_read_b64 v[6:7], v2 offset:8
	s_and_b64 s[0:1], s[14:15], s[0:1]
	v_cndmask_b32_e64 v4, v5, 8, s[0:1]
	v_mfma_f32_16x16x128_f8f6f4 a[16:19], v[54:61], v[86:93], a[16:19]
	v_add_u32_e32 v4, v3, v4
	s_waitcnt lgkmcnt(0)
	buffer_atomic_pk_add_f16 v6, v4, s[28:31], 0 offen
	buffer_atomic_pk_add_f16 v7, v4, s[28:31], 4 offen
	v_accvgpr_read_b32 v4, a20
	v_cvt_f16_f32_e32 v4, v4
	v_accvgpr_read_b32 v5, a21
	v_cvt_f16_f32_e32 v5, v5
	;; [unrolled: 2-line block ×4, first 2 shown]
	s_waitcnt lgkmcnt(0)
	s_barrier
	ds_write_b16 v1, v4
	ds_write_b16 v1, v5 offset:128
	ds_write_b16 v1, v6 offset:256
	;; [unrolled: 1-line block ×3, first 2 shown]
	v_accvgpr_read_b32 v4, a19
	v_cvt_f16_f32_e32 v4, v4
	v_accvgpr_read_b32 v5, a18
	v_cvt_f16_f32_e32 v5, v5
	;; [unrolled: 2-line block ×4, first 2 shown]
	ds_write_b16 v1, v4 offset:448
	ds_write_b16 v1, v5 offset:320
	;; [unrolled: 1-line block ×4, first 2 shown]
	s_waitcnt lgkmcnt(0)
	s_barrier
	ds_read_b64 v[4:5], v2
	s_and_b64 vcc, s[14:15], s[2:3]
	v_mfma_f32_16x16x128_f8f6f4 a[12:15], v[54:61], v[78:85], a[12:15]
	v_cndmask_b32_e32 v0, v0, v14, vcc
	v_add_u32_e32 v0, v3, v0
	s_waitcnt lgkmcnt(0)
	buffer_atomic_pk_add_f16 v4, v0, s[28:31], 0 offen
	buffer_atomic_pk_add_f16 v5, v0, s[28:31], 4 offen
	ds_read_b64 v[4:5], v2 offset:8
	s_and_b64 vcc, s[14:15], s[4:5]
	v_cndmask_b32_e32 v0, v15, v16, vcc
	v_add_u32_e32 v0, v3, v0
	v_mfma_f32_16x16x128_f8f6f4 a[8:11], v[54:61], v[70:77], a[8:11]
	s_waitcnt lgkmcnt(0)
	buffer_atomic_pk_add_f16 v4, v0, s[28:31], 0 offen
	buffer_atomic_pk_add_f16 v5, v0, s[28:31], 4 offen
	s_waitcnt lgkmcnt(0)
	v_accvgpr_read_b32 v0, a12
	v_cvt_f16_f32_e32 v0, v0
	v_accvgpr_read_b32 v4, a13
	v_cvt_f16_f32_e32 v4, v4
	;; [unrolled: 2-line block ×4, first 2 shown]
	s_barrier
	ds_write_b16 v1, v0
	ds_write_b16 v1, v4 offset:128
	ds_write_b16 v1, v5 offset:256
	;; [unrolled: 1-line block ×3, first 2 shown]
	v_accvgpr_read_b32 v0, a11
	v_cvt_f16_f32_e32 v0, v0
	v_accvgpr_read_b32 v4, a10
	v_cvt_f16_f32_e32 v4, v4
	;; [unrolled: 2-line block ×4, first 2 shown]
	ds_write_b16 v1, v0 offset:448
	ds_write_b16 v1, v4 offset:320
	ds_write_b16 v1, v5 offset:192
	ds_write_b16 v1, v6 offset:64
	s_waitcnt lgkmcnt(0)
	s_barrier
	ds_read_b64 v[4:5], v2
	s_and_b64 vcc, s[14:15], s[6:7]
	v_mfma_f32_16x16x128_f8f6f4 a[4:7], v[54:61], v[62:69], a[4:7]
	v_cndmask_b32_e32 v0, v17, v18, vcc
	v_add_u32_e32 v0, v3, v0
	s_waitcnt lgkmcnt(0)
	buffer_atomic_pk_add_f16 v4, v0, s[28:31], 0 offen
	buffer_atomic_pk_add_f16 v5, v0, s[28:31], 4 offen
	ds_read_b64 v[4:5], v2 offset:8
	s_and_b64 vcc, s[14:15], s[8:9]
	v_cndmask_b32_e32 v0, v19, v20, vcc
	v_add_u32_e32 v0, v3, v0
	v_mfma_f32_16x16x128_f8f6f4 a[0:3], v[54:61], v[24:31], a[0:3]
	s_waitcnt lgkmcnt(0)
	buffer_atomic_pk_add_f16 v4, v0, s[28:31], 0 offen
	buffer_atomic_pk_add_f16 v5, v0, s[28:31], 4 offen
	s_waitcnt lgkmcnt(0)
	v_accvgpr_read_b32 v0, a4
	v_cvt_f16_f32_e32 v0, v0
	v_accvgpr_read_b32 v4, a5
	v_cvt_f16_f32_e32 v4, v4
	;; [unrolled: 2-line block ×4, first 2 shown]
	s_barrier
	ds_write_b16 v1, v0
	ds_write_b16 v1, v4 offset:128
	ds_write_b16 v1, v5 offset:256
	;; [unrolled: 1-line block ×3, first 2 shown]
	v_accvgpr_read_b32 v0, a3
	v_cvt_f16_f32_e32 v0, v0
	v_accvgpr_read_b32 v4, a2
	v_cvt_f16_f32_e32 v4, v4
	;; [unrolled: 2-line block ×4, first 2 shown]
	ds_write_b16 v1, v0 offset:448
	ds_write_b16 v1, v4 offset:320
	;; [unrolled: 1-line block ×4, first 2 shown]
	s_waitcnt lgkmcnt(0)
	s_barrier
	ds_read_b64 v[0:1], v2
	v_mov_b32_e32 v4, 0x80000180
	v_mov_b32_e32 v5, 0x180
	s_and_b64 vcc, s[14:15], s[10:11]
	v_cndmask_b32_e32 v4, v4, v5, vcc
	v_add_u32_e32 v4, v3, v4
	s_waitcnt lgkmcnt(0)
	buffer_atomic_pk_add_f16 v0, v4, s[28:31], 0 offen
	buffer_atomic_pk_add_f16 v1, v4, s[28:31], 4 offen
	ds_read_b64 v[0:1], v2 offset:8
	s_and_b64 vcc, s[14:15], s[12:13]
	v_cndmask_b32_e32 v2, v21, v22, vcc
	v_add_u32_e32 v2, v3, v2
	s_waitcnt lgkmcnt(0)
	buffer_atomic_pk_add_f16 v0, v2, s[28:31], 0 offen
	buffer_atomic_pk_add_f16 v1, v2, s[28:31], 4 offen
	s_endpgm
	.section	.rodata,"a",@progbits
	.p2align	6, 0x0
	.amdhsa_kernel _ZN2ck27kernel_gemm_xdl_cshuffle_v3INS_28GridwiseGemm_xdl_cshuffle_v3INS_13tensor_layout4gemm8RowMajorENS3_11ColumnMajorES4_NS_9f8_fnuz_tES6_fDF16_DF16_NS_16tensor_operation12element_wise11PassThroughES9_S9_LNS7_6device18GemmSpecializationE0ELi256ELi224ELi256ELi128ELi16ELi16ELi16ELi16ELi7ELi8ENS_8SequenceIJLi8ELi32ELi1EEEENSC_IJLi1ELi0ELi2EEEESE_Li2ELi16ELi16ELb0ELi0ESD_SE_SE_Li2ELi16ELi16ELb0ELi0ELi1ELi2ENSC_IJLi1ELi32ELi1ELi8EEEELi4ELNS_26BlockGemmPipelineSchedulerE0ELNS_24BlockGemmPipelineVersionE2ES6_S6_Lb0ELb0ELb0ELi0ELb0EEELb1ELNS_25InMemoryDataOperationEnumE1ELi1ELNS_10TailNumberE10EEEvNT_8ArgumentE
		.amdhsa_group_segment_fixed_size 61440
		.amdhsa_private_segment_fixed_size 0
		.amdhsa_kernarg_size 112
		.amdhsa_user_sgpr_count 2
		.amdhsa_user_sgpr_dispatch_ptr 0
		.amdhsa_user_sgpr_queue_ptr 0
		.amdhsa_user_sgpr_kernarg_segment_ptr 1
		.amdhsa_user_sgpr_dispatch_id 0
		.amdhsa_user_sgpr_kernarg_preload_length 0
		.amdhsa_user_sgpr_kernarg_preload_offset 0
		.amdhsa_user_sgpr_private_segment_size 0
		.amdhsa_uses_dynamic_stack 0
		.amdhsa_enable_private_segment 0
		.amdhsa_system_sgpr_workgroup_id_x 1
		.amdhsa_system_sgpr_workgroup_id_y 0
		.amdhsa_system_sgpr_workgroup_id_z 1
		.amdhsa_system_sgpr_workgroup_info 0
		.amdhsa_system_vgpr_workitem_id 0
		.amdhsa_next_free_vgpr 456
		.amdhsa_next_free_sgpr 96
		.amdhsa_accum_offset 232
		.amdhsa_reserve_vcc 1
		.amdhsa_float_round_mode_32 0
		.amdhsa_float_round_mode_16_64 0
		.amdhsa_float_denorm_mode_32 3
		.amdhsa_float_denorm_mode_16_64 3
		.amdhsa_dx10_clamp 1
		.amdhsa_ieee_mode 1
		.amdhsa_fp16_overflow 0
		.amdhsa_tg_split 0
		.amdhsa_exception_fp_ieee_invalid_op 0
		.amdhsa_exception_fp_denorm_src 0
		.amdhsa_exception_fp_ieee_div_zero 0
		.amdhsa_exception_fp_ieee_overflow 0
		.amdhsa_exception_fp_ieee_underflow 0
		.amdhsa_exception_fp_ieee_inexact 0
		.amdhsa_exception_int_div_zero 0
	.end_amdhsa_kernel
	.section	.text._ZN2ck27kernel_gemm_xdl_cshuffle_v3INS_28GridwiseGemm_xdl_cshuffle_v3INS_13tensor_layout4gemm8RowMajorENS3_11ColumnMajorES4_NS_9f8_fnuz_tES6_fDF16_DF16_NS_16tensor_operation12element_wise11PassThroughES9_S9_LNS7_6device18GemmSpecializationE0ELi256ELi224ELi256ELi128ELi16ELi16ELi16ELi16ELi7ELi8ENS_8SequenceIJLi8ELi32ELi1EEEENSC_IJLi1ELi0ELi2EEEESE_Li2ELi16ELi16ELb0ELi0ESD_SE_SE_Li2ELi16ELi16ELb0ELi0ELi1ELi2ENSC_IJLi1ELi32ELi1ELi8EEEELi4ELNS_26BlockGemmPipelineSchedulerE0ELNS_24BlockGemmPipelineVersionE2ES6_S6_Lb0ELb0ELb0ELi0ELb0EEELb1ELNS_25InMemoryDataOperationEnumE1ELi1ELNS_10TailNumberE10EEEvNT_8ArgumentE,"axG",@progbits,_ZN2ck27kernel_gemm_xdl_cshuffle_v3INS_28GridwiseGemm_xdl_cshuffle_v3INS_13tensor_layout4gemm8RowMajorENS3_11ColumnMajorES4_NS_9f8_fnuz_tES6_fDF16_DF16_NS_16tensor_operation12element_wise11PassThroughES9_S9_LNS7_6device18GemmSpecializationE0ELi256ELi224ELi256ELi128ELi16ELi16ELi16ELi16ELi7ELi8ENS_8SequenceIJLi8ELi32ELi1EEEENSC_IJLi1ELi0ELi2EEEESE_Li2ELi16ELi16ELb0ELi0ESD_SE_SE_Li2ELi16ELi16ELb0ELi0ELi1ELi2ENSC_IJLi1ELi32ELi1ELi8EEEELi4ELNS_26BlockGemmPipelineSchedulerE0ELNS_24BlockGemmPipelineVersionE2ES6_S6_Lb0ELb0ELb0ELi0ELb0EEELb1ELNS_25InMemoryDataOperationEnumE1ELi1ELNS_10TailNumberE10EEEvNT_8ArgumentE,comdat
.Lfunc_end1:
	.size	_ZN2ck27kernel_gemm_xdl_cshuffle_v3INS_28GridwiseGemm_xdl_cshuffle_v3INS_13tensor_layout4gemm8RowMajorENS3_11ColumnMajorES4_NS_9f8_fnuz_tES6_fDF16_DF16_NS_16tensor_operation12element_wise11PassThroughES9_S9_LNS7_6device18GemmSpecializationE0ELi256ELi224ELi256ELi128ELi16ELi16ELi16ELi16ELi7ELi8ENS_8SequenceIJLi8ELi32ELi1EEEENSC_IJLi1ELi0ELi2EEEESE_Li2ELi16ELi16ELb0ELi0ESD_SE_SE_Li2ELi16ELi16ELb0ELi0ELi1ELi2ENSC_IJLi1ELi32ELi1ELi8EEEELi4ELNS_26BlockGemmPipelineSchedulerE0ELNS_24BlockGemmPipelineVersionE2ES6_S6_Lb0ELb0ELb0ELi0ELb0EEELb1ELNS_25InMemoryDataOperationEnumE1ELi1ELNS_10TailNumberE10EEEvNT_8ArgumentE, .Lfunc_end1-_ZN2ck27kernel_gemm_xdl_cshuffle_v3INS_28GridwiseGemm_xdl_cshuffle_v3INS_13tensor_layout4gemm8RowMajorENS3_11ColumnMajorES4_NS_9f8_fnuz_tES6_fDF16_DF16_NS_16tensor_operation12element_wise11PassThroughES9_S9_LNS7_6device18GemmSpecializationE0ELi256ELi224ELi256ELi128ELi16ELi16ELi16ELi16ELi7ELi8ENS_8SequenceIJLi8ELi32ELi1EEEENSC_IJLi1ELi0ELi2EEEESE_Li2ELi16ELi16ELb0ELi0ESD_SE_SE_Li2ELi16ELi16ELb0ELi0ELi1ELi2ENSC_IJLi1ELi32ELi1ELi8EEEELi4ELNS_26BlockGemmPipelineSchedulerE0ELNS_24BlockGemmPipelineVersionE2ES6_S6_Lb0ELb0ELb0ELi0ELb0EEELb1ELNS_25InMemoryDataOperationEnumE1ELi1ELNS_10TailNumberE10EEEvNT_8ArgumentE
                                        ; -- End function
	.set _ZN2ck27kernel_gemm_xdl_cshuffle_v3INS_28GridwiseGemm_xdl_cshuffle_v3INS_13tensor_layout4gemm8RowMajorENS3_11ColumnMajorES4_NS_9f8_fnuz_tES6_fDF16_DF16_NS_16tensor_operation12element_wise11PassThroughES9_S9_LNS7_6device18GemmSpecializationE0ELi256ELi224ELi256ELi128ELi16ELi16ELi16ELi16ELi7ELi8ENS_8SequenceIJLi8ELi32ELi1EEEENSC_IJLi1ELi0ELi2EEEESE_Li2ELi16ELi16ELb0ELi0ESD_SE_SE_Li2ELi16ELi16ELb0ELi0ELi1ELi2ENSC_IJLi1ELi32ELi1ELi8EEEELi4ELNS_26BlockGemmPipelineSchedulerE0ELNS_24BlockGemmPipelineVersionE2ES6_S6_Lb0ELb0ELb0ELi0ELb0EEELb1ELNS_25InMemoryDataOperationEnumE1ELi1ELNS_10TailNumberE10EEEvNT_8ArgumentE.num_vgpr, 230
	.set _ZN2ck27kernel_gemm_xdl_cshuffle_v3INS_28GridwiseGemm_xdl_cshuffle_v3INS_13tensor_layout4gemm8RowMajorENS3_11ColumnMajorES4_NS_9f8_fnuz_tES6_fDF16_DF16_NS_16tensor_operation12element_wise11PassThroughES9_S9_LNS7_6device18GemmSpecializationE0ELi256ELi224ELi256ELi128ELi16ELi16ELi16ELi16ELi7ELi8ENS_8SequenceIJLi8ELi32ELi1EEEENSC_IJLi1ELi0ELi2EEEESE_Li2ELi16ELi16ELb0ELi0ESD_SE_SE_Li2ELi16ELi16ELb0ELi0ELi1ELi2ENSC_IJLi1ELi32ELi1ELi8EEEELi4ELNS_26BlockGemmPipelineSchedulerE0ELNS_24BlockGemmPipelineVersionE2ES6_S6_Lb0ELb0ELb0ELi0ELb0EEELb1ELNS_25InMemoryDataOperationEnumE1ELi1ELNS_10TailNumberE10EEEvNT_8ArgumentE.num_agpr, 224
	.set _ZN2ck27kernel_gemm_xdl_cshuffle_v3INS_28GridwiseGemm_xdl_cshuffle_v3INS_13tensor_layout4gemm8RowMajorENS3_11ColumnMajorES4_NS_9f8_fnuz_tES6_fDF16_DF16_NS_16tensor_operation12element_wise11PassThroughES9_S9_LNS7_6device18GemmSpecializationE0ELi256ELi224ELi256ELi128ELi16ELi16ELi16ELi16ELi7ELi8ENS_8SequenceIJLi8ELi32ELi1EEEENSC_IJLi1ELi0ELi2EEEESE_Li2ELi16ELi16ELb0ELi0ESD_SE_SE_Li2ELi16ELi16ELb0ELi0ELi1ELi2ENSC_IJLi1ELi32ELi1ELi8EEEELi4ELNS_26BlockGemmPipelineSchedulerE0ELNS_24BlockGemmPipelineVersionE2ES6_S6_Lb0ELb0ELb0ELi0ELb0EEELb1ELNS_25InMemoryDataOperationEnumE1ELi1ELNS_10TailNumberE10EEEvNT_8ArgumentE.numbered_sgpr, 32
	.set _ZN2ck27kernel_gemm_xdl_cshuffle_v3INS_28GridwiseGemm_xdl_cshuffle_v3INS_13tensor_layout4gemm8RowMajorENS3_11ColumnMajorES4_NS_9f8_fnuz_tES6_fDF16_DF16_NS_16tensor_operation12element_wise11PassThroughES9_S9_LNS7_6device18GemmSpecializationE0ELi256ELi224ELi256ELi128ELi16ELi16ELi16ELi16ELi7ELi8ENS_8SequenceIJLi8ELi32ELi1EEEENSC_IJLi1ELi0ELi2EEEESE_Li2ELi16ELi16ELb0ELi0ESD_SE_SE_Li2ELi16ELi16ELb0ELi0ELi1ELi2ENSC_IJLi1ELi32ELi1ELi8EEEELi4ELNS_26BlockGemmPipelineSchedulerE0ELNS_24BlockGemmPipelineVersionE2ES6_S6_Lb0ELb0ELb0ELi0ELb0EEELb1ELNS_25InMemoryDataOperationEnumE1ELi1ELNS_10TailNumberE10EEEvNT_8ArgumentE.num_named_barrier, 0
	.set _ZN2ck27kernel_gemm_xdl_cshuffle_v3INS_28GridwiseGemm_xdl_cshuffle_v3INS_13tensor_layout4gemm8RowMajorENS3_11ColumnMajorES4_NS_9f8_fnuz_tES6_fDF16_DF16_NS_16tensor_operation12element_wise11PassThroughES9_S9_LNS7_6device18GemmSpecializationE0ELi256ELi224ELi256ELi128ELi16ELi16ELi16ELi16ELi7ELi8ENS_8SequenceIJLi8ELi32ELi1EEEENSC_IJLi1ELi0ELi2EEEESE_Li2ELi16ELi16ELb0ELi0ESD_SE_SE_Li2ELi16ELi16ELb0ELi0ELi1ELi2ENSC_IJLi1ELi32ELi1ELi8EEEELi4ELNS_26BlockGemmPipelineSchedulerE0ELNS_24BlockGemmPipelineVersionE2ES6_S6_Lb0ELb0ELb0ELi0ELb0EEELb1ELNS_25InMemoryDataOperationEnumE1ELi1ELNS_10TailNumberE10EEEvNT_8ArgumentE.private_seg_size, 0
	.set _ZN2ck27kernel_gemm_xdl_cshuffle_v3INS_28GridwiseGemm_xdl_cshuffle_v3INS_13tensor_layout4gemm8RowMajorENS3_11ColumnMajorES4_NS_9f8_fnuz_tES6_fDF16_DF16_NS_16tensor_operation12element_wise11PassThroughES9_S9_LNS7_6device18GemmSpecializationE0ELi256ELi224ELi256ELi128ELi16ELi16ELi16ELi16ELi7ELi8ENS_8SequenceIJLi8ELi32ELi1EEEENSC_IJLi1ELi0ELi2EEEESE_Li2ELi16ELi16ELb0ELi0ESD_SE_SE_Li2ELi16ELi16ELb0ELi0ELi1ELi2ENSC_IJLi1ELi32ELi1ELi8EEEELi4ELNS_26BlockGemmPipelineSchedulerE0ELNS_24BlockGemmPipelineVersionE2ES6_S6_Lb0ELb0ELb0ELi0ELb0EEELb1ELNS_25InMemoryDataOperationEnumE1ELi1ELNS_10TailNumberE10EEEvNT_8ArgumentE.uses_vcc, 1
	.set _ZN2ck27kernel_gemm_xdl_cshuffle_v3INS_28GridwiseGemm_xdl_cshuffle_v3INS_13tensor_layout4gemm8RowMajorENS3_11ColumnMajorES4_NS_9f8_fnuz_tES6_fDF16_DF16_NS_16tensor_operation12element_wise11PassThroughES9_S9_LNS7_6device18GemmSpecializationE0ELi256ELi224ELi256ELi128ELi16ELi16ELi16ELi16ELi7ELi8ENS_8SequenceIJLi8ELi32ELi1EEEENSC_IJLi1ELi0ELi2EEEESE_Li2ELi16ELi16ELb0ELi0ESD_SE_SE_Li2ELi16ELi16ELb0ELi0ELi1ELi2ENSC_IJLi1ELi32ELi1ELi8EEEELi4ELNS_26BlockGemmPipelineSchedulerE0ELNS_24BlockGemmPipelineVersionE2ES6_S6_Lb0ELb0ELb0ELi0ELb0EEELb1ELNS_25InMemoryDataOperationEnumE1ELi1ELNS_10TailNumberE10EEEvNT_8ArgumentE.uses_flat_scratch, 0
	.set _ZN2ck27kernel_gemm_xdl_cshuffle_v3INS_28GridwiseGemm_xdl_cshuffle_v3INS_13tensor_layout4gemm8RowMajorENS3_11ColumnMajorES4_NS_9f8_fnuz_tES6_fDF16_DF16_NS_16tensor_operation12element_wise11PassThroughES9_S9_LNS7_6device18GemmSpecializationE0ELi256ELi224ELi256ELi128ELi16ELi16ELi16ELi16ELi7ELi8ENS_8SequenceIJLi8ELi32ELi1EEEENSC_IJLi1ELi0ELi2EEEESE_Li2ELi16ELi16ELb0ELi0ESD_SE_SE_Li2ELi16ELi16ELb0ELi0ELi1ELi2ENSC_IJLi1ELi32ELi1ELi8EEEELi4ELNS_26BlockGemmPipelineSchedulerE0ELNS_24BlockGemmPipelineVersionE2ES6_S6_Lb0ELb0ELb0ELi0ELb0EEELb1ELNS_25InMemoryDataOperationEnumE1ELi1ELNS_10TailNumberE10EEEvNT_8ArgumentE.has_dyn_sized_stack, 0
	.set _ZN2ck27kernel_gemm_xdl_cshuffle_v3INS_28GridwiseGemm_xdl_cshuffle_v3INS_13tensor_layout4gemm8RowMajorENS3_11ColumnMajorES4_NS_9f8_fnuz_tES6_fDF16_DF16_NS_16tensor_operation12element_wise11PassThroughES9_S9_LNS7_6device18GemmSpecializationE0ELi256ELi224ELi256ELi128ELi16ELi16ELi16ELi16ELi7ELi8ENS_8SequenceIJLi8ELi32ELi1EEEENSC_IJLi1ELi0ELi2EEEESE_Li2ELi16ELi16ELb0ELi0ESD_SE_SE_Li2ELi16ELi16ELb0ELi0ELi1ELi2ENSC_IJLi1ELi32ELi1ELi8EEEELi4ELNS_26BlockGemmPipelineSchedulerE0ELNS_24BlockGemmPipelineVersionE2ES6_S6_Lb0ELb0ELb0ELi0ELb0EEELb1ELNS_25InMemoryDataOperationEnumE1ELi1ELNS_10TailNumberE10EEEvNT_8ArgumentE.has_recursion, 0
	.set _ZN2ck27kernel_gemm_xdl_cshuffle_v3INS_28GridwiseGemm_xdl_cshuffle_v3INS_13tensor_layout4gemm8RowMajorENS3_11ColumnMajorES4_NS_9f8_fnuz_tES6_fDF16_DF16_NS_16tensor_operation12element_wise11PassThroughES9_S9_LNS7_6device18GemmSpecializationE0ELi256ELi224ELi256ELi128ELi16ELi16ELi16ELi16ELi7ELi8ENS_8SequenceIJLi8ELi32ELi1EEEENSC_IJLi1ELi0ELi2EEEESE_Li2ELi16ELi16ELb0ELi0ESD_SE_SE_Li2ELi16ELi16ELb0ELi0ELi1ELi2ENSC_IJLi1ELi32ELi1ELi8EEEELi4ELNS_26BlockGemmPipelineSchedulerE0ELNS_24BlockGemmPipelineVersionE2ES6_S6_Lb0ELb0ELb0ELi0ELb0EEELb1ELNS_25InMemoryDataOperationEnumE1ELi1ELNS_10TailNumberE10EEEvNT_8ArgumentE.has_indirect_call, 0
	.section	.AMDGPU.csdata,"",@progbits
; Kernel info:
; codeLenInByte = 15172
; TotalNumSgprs: 38
; NumVgprs: 230
; NumAgprs: 224
; TotalNumVgprs: 456
; ScratchSize: 0
; MemoryBound: 0
; FloatMode: 240
; IeeeMode: 1
; LDSByteSize: 61440 bytes/workgroup (compile time only)
; SGPRBlocks: 12
; VGPRBlocks: 56
; NumSGPRsForWavesPerEU: 102
; NumVGPRsForWavesPerEU: 456
; AccumOffset: 232
; Occupancy: 1
; WaveLimiterHint : 0
; COMPUTE_PGM_RSRC2:SCRATCH_EN: 0
; COMPUTE_PGM_RSRC2:USER_SGPR: 2
; COMPUTE_PGM_RSRC2:TRAP_HANDLER: 0
; COMPUTE_PGM_RSRC2:TGID_X_EN: 1
; COMPUTE_PGM_RSRC2:TGID_Y_EN: 0
; COMPUTE_PGM_RSRC2:TGID_Z_EN: 1
; COMPUTE_PGM_RSRC2:TIDIG_COMP_CNT: 0
; COMPUTE_PGM_RSRC3_GFX90A:ACCUM_OFFSET: 57
; COMPUTE_PGM_RSRC3_GFX90A:TG_SPLIT: 0
	.section	.text._ZN2ck27kernel_gemm_xdl_cshuffle_v3INS_28GridwiseGemm_xdl_cshuffle_v3INS_13tensor_layout4gemm8RowMajorENS3_11ColumnMajorES4_NS_9f8_fnuz_tES6_fDF16_DF16_NS_16tensor_operation12element_wise11PassThroughES9_S9_LNS7_6device18GemmSpecializationE0ELi256ELi224ELi256ELi128ELi16ELi16ELi16ELi16ELi7ELi8ENS_8SequenceIJLi8ELi32ELi1EEEENSC_IJLi1ELi0ELi2EEEESE_Li2ELi16ELi16ELb0ELi0ESD_SE_SE_Li2ELi16ELi16ELb0ELi0ELi1ELi2ENSC_IJLi1ELi32ELi1ELi8EEEELi4ELNS_26BlockGemmPipelineSchedulerE0ELNS_24BlockGemmPipelineVersionE2ES6_S6_Lb0ELb0ELb0ELi0ELb0EEELb1ELNS_25InMemoryDataOperationEnumE0ELi1ELNS_10TailNumberE10EEEvNT_8ArgumentE,"axG",@progbits,_ZN2ck27kernel_gemm_xdl_cshuffle_v3INS_28GridwiseGemm_xdl_cshuffle_v3INS_13tensor_layout4gemm8RowMajorENS3_11ColumnMajorES4_NS_9f8_fnuz_tES6_fDF16_DF16_NS_16tensor_operation12element_wise11PassThroughES9_S9_LNS7_6device18GemmSpecializationE0ELi256ELi224ELi256ELi128ELi16ELi16ELi16ELi16ELi7ELi8ENS_8SequenceIJLi8ELi32ELi1EEEENSC_IJLi1ELi0ELi2EEEESE_Li2ELi16ELi16ELb0ELi0ESD_SE_SE_Li2ELi16ELi16ELb0ELi0ELi1ELi2ENSC_IJLi1ELi32ELi1ELi8EEEELi4ELNS_26BlockGemmPipelineSchedulerE0ELNS_24BlockGemmPipelineVersionE2ES6_S6_Lb0ELb0ELb0ELi0ELb0EEELb1ELNS_25InMemoryDataOperationEnumE0ELi1ELNS_10TailNumberE10EEEvNT_8ArgumentE,comdat
	.protected	_ZN2ck27kernel_gemm_xdl_cshuffle_v3INS_28GridwiseGemm_xdl_cshuffle_v3INS_13tensor_layout4gemm8RowMajorENS3_11ColumnMajorES4_NS_9f8_fnuz_tES6_fDF16_DF16_NS_16tensor_operation12element_wise11PassThroughES9_S9_LNS7_6device18GemmSpecializationE0ELi256ELi224ELi256ELi128ELi16ELi16ELi16ELi16ELi7ELi8ENS_8SequenceIJLi8ELi32ELi1EEEENSC_IJLi1ELi0ELi2EEEESE_Li2ELi16ELi16ELb0ELi0ESD_SE_SE_Li2ELi16ELi16ELb0ELi0ELi1ELi2ENSC_IJLi1ELi32ELi1ELi8EEEELi4ELNS_26BlockGemmPipelineSchedulerE0ELNS_24BlockGemmPipelineVersionE2ES6_S6_Lb0ELb0ELb0ELi0ELb0EEELb1ELNS_25InMemoryDataOperationEnumE0ELi1ELNS_10TailNumberE10EEEvNT_8ArgumentE ; -- Begin function _ZN2ck27kernel_gemm_xdl_cshuffle_v3INS_28GridwiseGemm_xdl_cshuffle_v3INS_13tensor_layout4gemm8RowMajorENS3_11ColumnMajorES4_NS_9f8_fnuz_tES6_fDF16_DF16_NS_16tensor_operation12element_wise11PassThroughES9_S9_LNS7_6device18GemmSpecializationE0ELi256ELi224ELi256ELi128ELi16ELi16ELi16ELi16ELi7ELi8ENS_8SequenceIJLi8ELi32ELi1EEEENSC_IJLi1ELi0ELi2EEEESE_Li2ELi16ELi16ELb0ELi0ESD_SE_SE_Li2ELi16ELi16ELb0ELi0ELi1ELi2ENSC_IJLi1ELi32ELi1ELi8EEEELi4ELNS_26BlockGemmPipelineSchedulerE0ELNS_24BlockGemmPipelineVersionE2ES6_S6_Lb0ELb0ELb0ELi0ELb0EEELb1ELNS_25InMemoryDataOperationEnumE0ELi1ELNS_10TailNumberE10EEEvNT_8ArgumentE
	.globl	_ZN2ck27kernel_gemm_xdl_cshuffle_v3INS_28GridwiseGemm_xdl_cshuffle_v3INS_13tensor_layout4gemm8RowMajorENS3_11ColumnMajorES4_NS_9f8_fnuz_tES6_fDF16_DF16_NS_16tensor_operation12element_wise11PassThroughES9_S9_LNS7_6device18GemmSpecializationE0ELi256ELi224ELi256ELi128ELi16ELi16ELi16ELi16ELi7ELi8ENS_8SequenceIJLi8ELi32ELi1EEEENSC_IJLi1ELi0ELi2EEEESE_Li2ELi16ELi16ELb0ELi0ESD_SE_SE_Li2ELi16ELi16ELb0ELi0ELi1ELi2ENSC_IJLi1ELi32ELi1ELi8EEEELi4ELNS_26BlockGemmPipelineSchedulerE0ELNS_24BlockGemmPipelineVersionE2ES6_S6_Lb0ELb0ELb0ELi0ELb0EEELb1ELNS_25InMemoryDataOperationEnumE0ELi1ELNS_10TailNumberE10EEEvNT_8ArgumentE
	.p2align	8
	.type	_ZN2ck27kernel_gemm_xdl_cshuffle_v3INS_28GridwiseGemm_xdl_cshuffle_v3INS_13tensor_layout4gemm8RowMajorENS3_11ColumnMajorES4_NS_9f8_fnuz_tES6_fDF16_DF16_NS_16tensor_operation12element_wise11PassThroughES9_S9_LNS7_6device18GemmSpecializationE0ELi256ELi224ELi256ELi128ELi16ELi16ELi16ELi16ELi7ELi8ENS_8SequenceIJLi8ELi32ELi1EEEENSC_IJLi1ELi0ELi2EEEESE_Li2ELi16ELi16ELb0ELi0ESD_SE_SE_Li2ELi16ELi16ELb0ELi0ELi1ELi2ENSC_IJLi1ELi32ELi1ELi8EEEELi4ELNS_26BlockGemmPipelineSchedulerE0ELNS_24BlockGemmPipelineVersionE2ES6_S6_Lb0ELb0ELb0ELi0ELb0EEELb1ELNS_25InMemoryDataOperationEnumE0ELi1ELNS_10TailNumberE10EEEvNT_8ArgumentE,@function
_ZN2ck27kernel_gemm_xdl_cshuffle_v3INS_28GridwiseGemm_xdl_cshuffle_v3INS_13tensor_layout4gemm8RowMajorENS3_11ColumnMajorES4_NS_9f8_fnuz_tES6_fDF16_DF16_NS_16tensor_operation12element_wise11PassThroughES9_S9_LNS7_6device18GemmSpecializationE0ELi256ELi224ELi256ELi128ELi16ELi16ELi16ELi16ELi7ELi8ENS_8SequenceIJLi8ELi32ELi1EEEENSC_IJLi1ELi0ELi2EEEESE_Li2ELi16ELi16ELb0ELi0ESD_SE_SE_Li2ELi16ELi16ELb0ELi0ELi1ELi2ENSC_IJLi1ELi32ELi1ELi8EEEELi4ELNS_26BlockGemmPipelineSchedulerE0ELNS_24BlockGemmPipelineVersionE2ES6_S6_Lb0ELb0ELb0ELi0ELb0EEELb1ELNS_25InMemoryDataOperationEnumE0ELi1ELNS_10TailNumberE10EEEvNT_8ArgumentE: ; @_ZN2ck27kernel_gemm_xdl_cshuffle_v3INS_28GridwiseGemm_xdl_cshuffle_v3INS_13tensor_layout4gemm8RowMajorENS3_11ColumnMajorES4_NS_9f8_fnuz_tES6_fDF16_DF16_NS_16tensor_operation12element_wise11PassThroughES9_S9_LNS7_6device18GemmSpecializationE0ELi256ELi224ELi256ELi128ELi16ELi16ELi16ELi16ELi7ELi8ENS_8SequenceIJLi8ELi32ELi1EEEENSC_IJLi1ELi0ELi2EEEESE_Li2ELi16ELi16ELb0ELi0ESD_SE_SE_Li2ELi16ELi16ELb0ELi0ELi1ELi2ENSC_IJLi1ELi32ELi1ELi8EEEELi4ELNS_26BlockGemmPipelineSchedulerE0ELNS_24BlockGemmPipelineVersionE2ES6_S6_Lb0ELb0ELb0ELi0ELb0EEELb1ELNS_25InMemoryDataOperationEnumE0ELi1ELNS_10TailNumberE10EEEvNT_8ArgumentE
; %bb.0:
	s_load_dwordx8 s[20:27], s[0:1], 0x10
	s_load_dwordx2 s[8:9], s[0:1], 0x60
	s_load_dword s12, s[0:1], 0x68
	s_load_dword s15, s[0:1], 0x3c
	s_load_dwordx4 s[4:7], s[0:1], 0x50
	s_waitcnt lgkmcnt(0)
	s_cmp_gt_i32 s26, 1
	s_cselect_b64 s[10:11], -1, 0
	s_bitcmp1_b32 s12, 0
	s_cselect_b64 s[12:13], -1, 0
	s_and_b64 s[10:11], s[10:11], s[12:13]
	s_andn2_b64 vcc, exec, s[10:11]
	s_mov_b64 s[10:11], 0
	s_cbranch_vccnz .LBB2_2
; %bb.1:
	s_mul_i32 s10, s20, s3
	s_mul_i32 s10, s10, s21
	s_ashr_i32 s11, s10, 31
.LBB2_2:
	s_load_dword s13, s[0:1], 0x34
	s_add_i32 s12, s20, -1
	s_cmpk_lt_u32 s12, 0xe0
	s_mov_b32 s1, 0
	s_cbranch_scc1 .LBB2_10
; %bb.3:
	s_add_i32 s0, s21, -1
	s_cmpk_lt_u32 s0, 0x100
	s_mov_b32 s0, 0
	s_cbranch_scc1 .LBB2_9
; %bb.4:
	s_add_i32 s0, s20, 0xdf
	s_mul_hi_i32 s1, s0, 0x92492493
	s_add_i32 s1, s1, s0
	s_lshr_b32 s0, s1, 31
	s_ashr_i32 s16, s1, 7
	s_add_i32 s16, s16, s0
	s_add_i32 s0, s21, 0xff
	s_ashr_i32 s1, s0, 31
	s_lshr_b32 s1, s1, 24
	s_add_i32 s0, s0, s1
	s_ashr_i32 s14, s0, 8
	s_mul_i32 s0, s14, s16
	s_add_i32 s1, s0, 7
	s_ashr_i32 s17, s1, 31
	s_lshr_b32 s17, s17, 29
	s_add_i32 s1, s1, s17
	s_ashr_i32 s17, s1, 3
	s_and_b32 s1, s1, -8
	s_sub_i32 s18, s0, s1
	s_ashr_i32 s0, s2, 31
	s_lshr_b32 s0, s0, 29
	s_add_i32 s27, s2, s0
	s_and_b32 s0, s27, -8
	s_add_i32 s18, s18, 8
	s_sub_i32 s19, s2, s0
	s_cmp_gt_i32 s19, s18
	s_cbranch_scc1 .LBB2_6
; %bb.5:
	s_mul_i32 s2, s17, s19
	s_ashr_i32 s0, s27, 3
	s_cbranch_execz .LBB2_7
	s_branch .LBB2_8
.LBB2_6:
                                        ; implicit-def: $sgpr2
	s_ashr_i32 s0, s27, 3
.LBB2_7:
	s_add_i32 s1, s17, -1
	s_mul_i32 s1, s1, s19
	s_add_i32 s2, s18, s1
.LBB2_8:
	s_abs_i32 s1, s14
	v_cvt_f32_u32_e32 v1, s1
	s_sub_i32 s18, 0, s1
	s_add_i32 s0, s2, s0
	s_abs_i32 s17, s0
	v_rcp_iflag_f32_e32 v1, v1
	s_xor_b32 s2, s0, s14
	s_ashr_i32 s2, s2, 31
	v_mul_f32_e32 v1, 0x4f7ffffe, v1
	v_cvt_u32_f32_e32 v1, v1
	s_nop 0
	v_readfirstlane_b32 s19, v1
	s_mul_i32 s18, s18, s19
	s_mul_hi_u32 s18, s19, s18
	s_add_i32 s19, s19, s18
	s_mul_hi_u32 s18, s17, s19
	s_mul_i32 s19, s18, s1
	s_sub_i32 s17, s17, s19
	s_add_i32 s27, s18, 1
	s_sub_i32 s19, s17, s1
	s_cmp_ge_u32 s17, s1
	s_cselect_b32 s18, s27, s18
	s_cselect_b32 s17, s19, s17
	s_add_i32 s19, s18, 1
	s_cmp_ge_u32 s17, s1
	s_cselect_b32 s1, s19, s18
	s_xor_b32 s1, s1, s2
	s_lshr_b32 s17, s16, 30
	s_sub_i32 s1, s1, s2
	s_add_i32 s17, s16, s17
	s_mul_i32 s2, s1, s14
	s_sub_i32 s0, s0, s2
	s_and_b32 s2, s17, -4
	s_sub_i32 s16, s16, s2
	s_cmp_ge_i32 s1, s2
	s_cselect_b32 s2, s16, 4
	s_abs_i32 s17, s2
	v_cvt_f32_u32_e32 v1, s17
	s_ashr_i32 s16, s1, 31
	s_lshr_b32 s16, s16, 30
	s_add_i32 s16, s1, s16
	v_rcp_iflag_f32_e32 v1, v1
	s_and_b32 s16, s16, -4
	s_sub_i32 s16, s1, s16
	s_sub_i32 s19, 0, s17
	v_mul_f32_e32 v1, 0x4f7ffffe, v1
	v_cvt_u32_f32_e32 v1, v1
	s_mul_i32 s14, s16, s14
	s_add_i32 s14, s14, s0
	s_abs_i32 s18, s14
	v_readfirstlane_b32 s27, v1
	s_mul_i32 s19, s19, s27
	s_mul_hi_u32 s19, s27, s19
	s_add_i32 s27, s27, s19
	s_mul_hi_u32 s19, s18, s27
	s_mul_i32 s27, s19, s17
	s_xor_b32 s0, s14, s2
	s_sub_i32 s18, s18, s27
	s_ashr_i32 s0, s0, 31
	s_add_i32 s27, s19, 1
	s_sub_i32 s28, s18, s17
	s_cmp_ge_u32 s18, s17
	s_cselect_b32 s19, s27, s19
	s_cselect_b32 s18, s28, s18
	s_add_i32 s27, s19, 1
	s_cmp_ge_u32 s18, s17
	s_cselect_b32 s17, s27, s19
	s_xor_b32 s17, s17, s0
	s_sub_i32 s0, s17, s0
	s_mul_i32 s2, s0, s2
	s_sub_i32 s2, s14, s2
	s_add_i32 s2, s2, s1
	s_sub_i32 s2, s2, s16
.LBB2_9:
	s_mov_b32 s1, s2
	s_mov_b32 s2, s0
.LBB2_10:
	s_add_i32 s0, s26, -1
	s_waitcnt lgkmcnt(0)
	s_mul_i32 s16, s0, s13
	s_sub_i32 s16, s22, s16
	s_mul_i32 s14, s13, s3
	s_cmp_lt_u32 s3, s0
	s_cselect_b32 s16, s13, s16
	s_ashr_i32 s3, s14, 31
	s_add_u32 s0, s4, s14
	s_addc_u32 s5, s5, s3
	v_lshrrev_b32_e32 v42, 3, v0
	s_add_u32 s4, s6, s14
	s_mul_i32 s13, s1, 0xe0
	v_and_b32_e32 v53, 7, v0
	v_mul_u32_u24_e32 v1, 7, v42
	s_addc_u32 s7, s7, s3
	s_add_i32 s3, s21, -1
	v_mad_u32_u24 v3, v42, 7, s13
	v_lshlrev_b32_e32 v2, 4, v53
	v_xor_b32_e32 v50, v1, v0
	v_bitop3_b32 v57, v1, 7, v0 bitop3:0x48
	v_mul_u32_u24_e32 v1, 0x380, v42
	s_mul_i32 s17, s3, s24
	s_lshl_b32 s14, s2, 8
	v_mad_u64_u32 v[38:39], s[2:3], v3, s23, v[2:3]
	v_lshl_or_b32 v52, v57, 4, v1
	v_and_b32_e32 v1, 0xf8, v0
	v_or_b32_e32 v3, s14, v1
	v_and_b32_e32 v39, 15, v0
	v_bitop3_b32 v54, v42, v53, 6 bitop3:0x6c
	v_mad_u64_u32 v[40:41], s[2:3], v3, s24, v[2:3]
	v_lshl_or_b32 v78, v1, 7, v2
	v_and_or_b32 v1, v42, 16, v39
	v_lshlrev_b32_e32 v2, 4, v54
	v_lshl_or_b32 v43, v1, 7, v2
	v_lshrrev_b32_e32 v1, 2, v0
	s_ashr_i32 s1, s15, 31
	v_and_b32_e32 v41, 16, v1
	s_lshr_b32 s1, s1, 29
	v_or_b32_e32 v3, v41, v39
	s_add_i32 s15, s15, s1
	s_mul_i32 s6, s12, s23
	v_lshl_or_b32 v44, v3, 7, v2
	s_ashr_i32 s15, s15, 3
	; sched_barrier mask(0x00000000)
	s_add_u32 s1, 0, 0
	s_addc_u32 s2, s16, s6
	s_and_b32 s1, s5, 0xffff
	s_mov_b32 s3, 0x20000
	buffer_load_dwordx4 v[46:49], v38, s[0:3], 0 offen
	v_add_u32_e32 v2, s23, v38
	buffer_load_dwordx4 v[58:61], v2, s[0:3], 0 offen
	v_add_u32_e32 v2, s23, v2
	;; [unrolled: 2-line block ×5, first 2 shown]
	v_add_u32_e32 v45, s23, v2
	buffer_load_dwordx4 v[74:77], v2, s[0:3], 0 offen
	buffer_load_dwordx4 v[14:17], v45, s[0:3], 0 offen
	s_add_u32 s5, 0, 0
	s_addc_u32 s6, s16, s17
	s_and_b32 s5, s7, 0xffff
	s_mov_b32 s7, s3
	v_add_u32_e32 v2, s24, v40
	buffer_load_dwordx4 v[34:37], v40, s[4:7], 0 offen
	buffer_load_dwordx4 v[30:33], v2, s[4:7], 0 offen
	v_add_u32_e32 v2, s24, v2
	buffer_load_dwordx4 v[26:29], v2, s[4:7], 0 offen
	v_add_u32_e32 v2, s24, v2
	;; [unrolled: 2-line block ×6, first 2 shown]
	buffer_load_dwordx4 v[2:5], v51, s[4:7], 0 offen
	s_mul_i32 s19, s23, -6
	s_addk_i32 s19, 0x80
	v_add_u32_e32 v56, s19, v45
	v_mad_u32_u24 v45, v42, 7, 1
	s_mul_i32 s19, s24, -7
	s_addk_i32 s19, 0x80
	v_add_u32_e32 v55, s19, v51
	v_bitop3_b32 v50, v50, 4, 7 bitop3:0x6c
	buffer_load_dwordx4 v[214:217], v56, s[0:3], 0 offen
	s_mov_b32 s16, s6
	s_movk_i32 s18, 0x80
	s_waitcnt vmcnt(15)
	ds_write_b128 v52, v[46:49]
	v_bitop3_b32 v46, v45, 7, v0 bitop3:0x48
	v_sub_u32_e32 v45, v46, v57
	v_lshlrev_b32_e32 v47, 4, v45
	v_mad_u32_u24 v48, v42, 7, 2
	v_add_u32_e32 v45, 0x80, v47
	v_add_u32_e32 v47, v52, v47
	v_bitop3_b32 v48, v48, 7, v0 bitop3:0x48
	s_waitcnt vmcnt(14)
	ds_write_b128 v47, v[58:61] offset:128
	v_sub_u32_e32 v46, v48, v46
	v_mov_b32_e32 v58, 0x80
	v_lshl_add_u32 v46, v46, 4, v58
	v_add_u32_e32 v49, v47, v46
	v_mad_u32_u24 v47, v42, 7, 3
	v_bitop3_b32 v51, v47, 7, v0 bitop3:0x48
	v_sub_u32_e32 v47, v51, v48
	v_lshl_add_u32 v47, v47, 4, v58
	v_sub_u32_e32 v48, v50, v51
	s_waitcnt vmcnt(13)
	ds_write_b128 v49, v[62:65] offset:128
	v_add_u32_e32 v49, v49, v47
	v_lshl_add_u32 v48, v48, 4, v58
	s_waitcnt vmcnt(12)
	ds_write_b128 v49, v[66:69] offset:128
	v_add_u32_e32 v51, v49, v48
	v_mad_u32_u24 v49, v42, 7, 5
	v_bitop3_b32 v59, v49, 7, v0 bitop3:0x48
	v_sub_u32_e32 v49, v59, v50
	v_mad_u32_u24 v50, v42, 7, 6
	v_bitop3_b32 v61, v50, 7, v0 bitop3:0x48
	v_lshl_add_u32 v49, v49, 4, v58
	v_sub_u32_e32 v50, v61, v59
	v_add_u32_e32 v60, v51, v49
	v_lshl_add_u32 v50, v50, 4, v58
	v_add_u32_e32 v59, v60, v50
	s_waitcnt vmcnt(11)
	ds_write_b128 v51, v[70:73] offset:128
	s_waitcnt vmcnt(10)
	ds_write_b128 v60, v[74:77] offset:128
	;; [unrolled: 2-line block ×3, first 2 shown]
	v_sub_u32_e32 v14, v57, v61
	v_mov_b32_e32 v15, 0xfffffd00
	v_bitop3_b32 v16, v0, 1, 7 bitop3:0x6c
	v_lshl_add_u32 v14, v14, 4, v15
	v_sub_u32_e32 v15, v16, v53
	v_lshlrev_b32_e32 v15, 4, v15
	v_add_u32_e32 v17, v78, v15
	s_waitcnt vmcnt(8)
	ds_write_b128 v78, v[34:37] offset:28672
	v_add_u32_e32 v34, 0x80, v17
	s_waitcnt vmcnt(7)
	ds_write_b128 v17, v[30:33] offset:28800
	v_bitop3_b32 v17, v0, 2, 7 bitop3:0x6c
	v_sub_u32_e32 v16, v17, v16
	v_lshlrev_b32_e32 v30, 4, v16
	v_add_u32_e32 v16, 0x80, v30
	v_add_u32_e32 v30, v30, v34
	s_waitcnt vmcnt(6)
	ds_write_b128 v30, v[26:29] offset:28800
	v_bitop3_b32 v26, v0, 3, 7 bitop3:0x6c
	v_sub_u32_e32 v17, v26, v17
	v_lshl_add_u32 v17, v17, 4, v58
	v_add_u32_e32 v28, v30, v17
	s_waitcnt vmcnt(5)
	ds_write_b128 v28, v[22:25] offset:28800
	v_bitop3_b32 v23, v0, 4, 7 bitop3:0x6c
	v_sub_u32_e32 v22, v23, v26
	v_lshl_add_u32 v22, v22, 4, v58
	;; [unrolled: 6-line block ×5, first 2 shown]
	v_add_u32_e32 v9, v12, v6
	s_waitcnt vmcnt(1)
	ds_write_b128 v9, v[2:5] offset:28800
	v_add_u32_e32 v3, s23, v56
	v_add3_u32 v27, v16, v34, v17
	buffer_load_dwordx4 v[32:35], v3, s[0:3], 0 offen
	v_add_u32_e32 v3, s23, v3
	buffer_load_dwordx4 v[166:169], v3, s[0:3], 0 offen
	v_add_u32_e32 v3, s23, v3
	buffer_load_dwordx4 v[170:173], v3, s[0:3], 0 offen
	v_add_u32_e32 v3, s23, v3
	buffer_load_dwordx4 v[174:177], v3, s[0:3], 0 offen
	v_add_u32_e32 v3, s23, v3
	buffer_load_dwordx4 v[178:181], v3, s[0:3], 0 offen
	v_add_u32_e32 v3, s23, v3
	buffer_load_dwordx4 v[182:185], v3, s[0:3], 0 offen
	buffer_load_dwordx4 v[186:189], v55, s[4:7], 0 offen
	v_add_u32_e32 v3, s24, v55
	buffer_load_dwordx4 v[190:193], v3, s[4:7], 0 offen
	v_add_u32_e32 v3, s24, v3
	;; [unrolled: 2-line block ×7, first 2 shown]
	buffer_load_dwordx4 v[218:221], v3, s[4:7], 0 offen
	v_and_b32_e32 v3, 6, v42
	v_bitop3_b32 v3, v3, v53, 1 bitop3:0x36
	v_sub_u32_e32 v3, v3, v54
	v_lshlrev_b32_e32 v4, 4, v3
	v_add_u32_e32 v3, v43, v4
	v_add_u32_e32 v4, v44, v4
	v_add3_u32 v20, v27, v22, v18
	s_waitcnt lgkmcnt(0)
	s_barrier
	ds_read_b128 v[158:161], v43
	ds_read_b128 v[162:165], v3
	ds_read_b128 v[150:153], v43 offset:4096
	ds_read_b128 v[154:157], v3 offset:4096
	ds_read_b128 v[134:137], v43 offset:8192
	ds_read_b128 v[138:141], v3 offset:8192
	ds_read_b128 v[126:129], v43 offset:12288
	ds_read_b128 v[130:133], v3 offset:12288
	ds_read_b128 v[118:121], v43 offset:16384
	ds_read_b128 v[122:125], v3 offset:16384
	ds_read_b128 v[142:145], v43 offset:20480
	ds_read_b128 v[146:149], v3 offset:20480
	ds_read_b128 v[54:57], v43 offset:24576
	ds_read_b128 v[58:61], v3 offset:24576
	ds_read_b128 v[110:113], v44 offset:28672
	ds_read_b128 v[114:117], v4 offset:28672
	ds_read_b128 v[102:105], v44 offset:32768
	ds_read_b128 v[106:109], v4 offset:32768
	ds_read_b128 v[94:97], v44 offset:36864
	ds_read_b128 v[98:101], v4 offset:36864
	ds_read_b128 v[86:89], v44 offset:40960
	ds_read_b128 v[90:93], v4 offset:40960
	ds_read_b128 v[78:81], v44 offset:45056
	ds_read_b128 v[82:85], v4 offset:45056
	ds_read_b128 v[70:73], v44 offset:49152
	ds_read_b128 v[74:77], v4 offset:49152
	ds_read_b128 v[62:65], v44 offset:53248
	ds_read_b128 v[66:69], v4 offset:53248
	ds_read_b128 v[24:27], v44 offset:57344
	ds_read_b128 v[28:31], v4 offset:57344
	v_add_u32_e32 v51, v45, v46
	v_add3_u32 v51, v51, v47, v48
	v_add3_u32 v51, v51, v49, v50
	v_sub_u32_e32 v2, v53, v8
	v_add_u32_e32 v52, v51, v52
	v_add3_u32 v7, v20, v10, v6
	v_lshlrev_b32_e32 v2, 4, v2
	; sched_barrier mask(0x00000000)
	v_add_u32_e32 v5, v15, v16
	v_add3_u32 v5, v5, v17, v22
	s_max_i32 s6, s15, 2
	v_add3_u32 v5, v5, v18, v10
	v_add3_u32 v5, v5, v6, s18
	v_add_u32_e32 v8, 0x100, v40
	v_add_u32_e32 v9, 0x100, v38
	s_add_i32 s15, s6, -1
	v_accvgpr_write_b32 a223, 0
	v_accvgpr_write_b32 a222, 0
	v_accvgpr_write_b32 a221, 0
	v_accvgpr_write_b32 a220, 0
	v_accvgpr_write_b32 a219, 0
	v_accvgpr_write_b32 a218, 0
	v_accvgpr_write_b32 a217, 0
	v_accvgpr_write_b32 a216, 0
	v_accvgpr_write_b32 a215, 0
	v_accvgpr_write_b32 a214, 0
	v_accvgpr_write_b32 a213, 0
	v_accvgpr_write_b32 a212, 0
	v_accvgpr_write_b32 a211, 0
	v_accvgpr_write_b32 a210, 0
	v_accvgpr_write_b32 a209, 0
	v_accvgpr_write_b32 a208, 0
	v_accvgpr_write_b32 a207, 0
	v_accvgpr_write_b32 a206, 0
	v_accvgpr_write_b32 a205, 0
	v_accvgpr_write_b32 a204, 0
	v_accvgpr_write_b32 a203, 0
	v_accvgpr_write_b32 a202, 0
	v_accvgpr_write_b32 a201, 0
	v_accvgpr_write_b32 a200, 0
	v_accvgpr_write_b32 a199, 0
	v_accvgpr_write_b32 a198, 0
	v_accvgpr_write_b32 a197, 0
	v_accvgpr_write_b32 a196, 0
	v_accvgpr_write_b32 a195, 0
	v_accvgpr_write_b32 a194, 0
	v_accvgpr_write_b32 a193, 0
	v_accvgpr_write_b32 a192, 0
	v_accvgpr_write_b32 a191, 0
	v_accvgpr_write_b32 a190, 0
	v_accvgpr_write_b32 a189, 0
	v_accvgpr_write_b32 a188, 0
	v_accvgpr_write_b32 a187, 0
	v_accvgpr_write_b32 a186, 0
	v_accvgpr_write_b32 a185, 0
	v_accvgpr_write_b32 a184, 0
	v_accvgpr_write_b32 a183, 0
	v_accvgpr_write_b32 a182, 0
	v_accvgpr_write_b32 a181, 0
	v_accvgpr_write_b32 a180, 0
	v_accvgpr_write_b32 a179, 0
	v_accvgpr_write_b32 a178, 0
	v_accvgpr_write_b32 a177, 0
	v_accvgpr_write_b32 a176, 0
	v_accvgpr_write_b32 a175, 0
	v_accvgpr_write_b32 a174, 0
	v_accvgpr_write_b32 a173, 0
	v_accvgpr_write_b32 a172, 0
	v_accvgpr_write_b32 a171, 0
	v_accvgpr_write_b32 a170, 0
	v_accvgpr_write_b32 a169, 0
	v_accvgpr_write_b32 a168, 0
	v_accvgpr_write_b32 a167, 0
	v_accvgpr_write_b32 a166, 0
	v_accvgpr_write_b32 a165, 0
	v_accvgpr_write_b32 a164, 0
	v_accvgpr_write_b32 a163, 0
	v_accvgpr_write_b32 a162, 0
	v_accvgpr_write_b32 a161, 0
	v_accvgpr_write_b32 a160, 0
	v_accvgpr_write_b32 a159, 0
	v_accvgpr_write_b32 a158, 0
	v_accvgpr_write_b32 a157, 0
	v_accvgpr_write_b32 a156, 0
	v_accvgpr_write_b32 a155, 0
	v_accvgpr_write_b32 a154, 0
	v_accvgpr_write_b32 a153, 0
	v_accvgpr_write_b32 a152, 0
	v_accvgpr_write_b32 a151, 0
	v_accvgpr_write_b32 a150, 0
	v_accvgpr_write_b32 a149, 0
	v_accvgpr_write_b32 a148, 0
	v_accvgpr_write_b32 a147, 0
	v_accvgpr_write_b32 a146, 0
	v_accvgpr_write_b32 a145, 0
	v_accvgpr_write_b32 a144, 0
	v_accvgpr_write_b32 a143, 0
	v_accvgpr_write_b32 a142, 0
	v_accvgpr_write_b32 a141, 0
	v_accvgpr_write_b32 a140, 0
	v_accvgpr_write_b32 a139, 0
	v_accvgpr_write_b32 a138, 0
	v_accvgpr_write_b32 a137, 0
	v_accvgpr_write_b32 a136, 0
	v_accvgpr_write_b32 a135, 0
	v_accvgpr_write_b32 a134, 0
	v_accvgpr_write_b32 a133, 0
	v_accvgpr_write_b32 a132, 0
	v_accvgpr_write_b32 a127, 0
	v_accvgpr_write_b32 a126, 0
	v_accvgpr_write_b32 a125, 0
	v_accvgpr_write_b32 a124, 0
	v_accvgpr_write_b32 a123, 0
	v_accvgpr_write_b32 a122, 0
	v_accvgpr_write_b32 a121, 0
	v_accvgpr_write_b32 a120, 0
	v_accvgpr_write_b32 a119, 0
	v_accvgpr_write_b32 a118, 0
	v_accvgpr_write_b32 a117, 0
	v_accvgpr_write_b32 a116, 0
	v_accvgpr_write_b32 a115, 0
	v_accvgpr_write_b32 a114, 0
	v_accvgpr_write_b32 a113, 0
	v_accvgpr_write_b32 a112, 0
	v_accvgpr_write_b32 a111, 0
	v_accvgpr_write_b32 a110, 0
	v_accvgpr_write_b32 a109, 0
	v_accvgpr_write_b32 a108, 0
	v_accvgpr_write_b32 a107, 0
	v_accvgpr_write_b32 a106, 0
	v_accvgpr_write_b32 a105, 0
	v_accvgpr_write_b32 a104, 0
	v_accvgpr_write_b32 a103, 0
	v_accvgpr_write_b32 a102, 0
	v_accvgpr_write_b32 a101, 0
	v_accvgpr_write_b32 a100, 0
	v_accvgpr_write_b32 a95, 0
	v_accvgpr_write_b32 a94, 0
	v_accvgpr_write_b32 a93, 0
	v_accvgpr_write_b32 a92, 0
	v_accvgpr_write_b32 a91, 0
	v_accvgpr_write_b32 a90, 0
	v_accvgpr_write_b32 a89, 0
	v_accvgpr_write_b32 a88, 0
	v_accvgpr_write_b32 a87, 0
	v_accvgpr_write_b32 a86, 0
	v_accvgpr_write_b32 a85, 0
	v_accvgpr_write_b32 a84, 0
	v_accvgpr_write_b32 a83, 0
	v_accvgpr_write_b32 a82, 0
	v_accvgpr_write_b32 a81, 0
	v_accvgpr_write_b32 a80, 0
	v_accvgpr_write_b32 a99, 0
	v_accvgpr_write_b32 a98, 0
	v_accvgpr_write_b32 a97, 0
	v_accvgpr_write_b32 a96, 0
	v_accvgpr_write_b32 a131, 0
	v_accvgpr_write_b32 a130, 0
	v_accvgpr_write_b32 a129, 0
	v_accvgpr_write_b32 a128, 0
	v_accvgpr_write_b32 a79, 0
	v_accvgpr_write_b32 a78, 0
	v_accvgpr_write_b32 a77, 0
	v_accvgpr_write_b32 a76, 0
	v_accvgpr_write_b32 a75, 0
	v_accvgpr_write_b32 a74, 0
	v_accvgpr_write_b32 a73, 0
	v_accvgpr_write_b32 a72, 0
	v_accvgpr_write_b32 a71, 0
	v_accvgpr_write_b32 a70, 0
	v_accvgpr_write_b32 a69, 0
	v_accvgpr_write_b32 a68, 0
	v_accvgpr_write_b32 a67, 0
	v_accvgpr_write_b32 a66, 0
	v_accvgpr_write_b32 a65, 0
	v_accvgpr_write_b32 a64, 0
	v_accvgpr_write_b32 a63, 0
	v_accvgpr_write_b32 a62, 0
	v_accvgpr_write_b32 a61, 0
	v_accvgpr_write_b32 a60, 0
	v_accvgpr_write_b32 a59, 0
	v_accvgpr_write_b32 a58, 0
	v_accvgpr_write_b32 a57, 0
	v_accvgpr_write_b32 a56, 0
	v_accvgpr_write_b32 a55, 0
	v_accvgpr_write_b32 a54, 0
	v_accvgpr_write_b32 a53, 0
	v_accvgpr_write_b32 a52, 0
	v_accvgpr_write_b32 a51, 0
	v_accvgpr_write_b32 a50, 0
	v_accvgpr_write_b32 a49, 0
	v_accvgpr_write_b32 a48, 0
	v_accvgpr_write_b32 a47, 0
	v_accvgpr_write_b32 a46, 0
	v_accvgpr_write_b32 a45, 0
	v_accvgpr_write_b32 a44, 0
	v_accvgpr_write_b32 a43, 0
	v_accvgpr_write_b32 a42, 0
	v_accvgpr_write_b32 a41, 0
	v_accvgpr_write_b32 a40, 0
	v_accvgpr_write_b32 a39, 0
	v_accvgpr_write_b32 a38, 0
	v_accvgpr_write_b32 a37, 0
	v_accvgpr_write_b32 a36, 0
	v_accvgpr_write_b32 a35, 0
	v_accvgpr_write_b32 a34, 0
	v_accvgpr_write_b32 a33, 0
	v_accvgpr_write_b32 a32, 0
	v_accvgpr_write_b32 a31, 0
	v_accvgpr_write_b32 a30, 0
	v_accvgpr_write_b32 a29, 0
	v_accvgpr_write_b32 a28, 0
	v_accvgpr_write_b32 a27, 0
	v_accvgpr_write_b32 a26, 0
	v_accvgpr_write_b32 a25, 0
	v_accvgpr_write_b32 a24, 0
	v_accvgpr_write_b32 a23, 0
	v_accvgpr_write_b32 a22, 0
	v_accvgpr_write_b32 a21, 0
	v_accvgpr_write_b32 a20, 0
	v_accvgpr_write_b32 a19, 0
	v_accvgpr_write_b32 a18, 0
	v_accvgpr_write_b32 a17, 0
	v_accvgpr_write_b32 a16, 0
	v_accvgpr_write_b32 a15, 0
	v_accvgpr_write_b32 a14, 0
	v_accvgpr_write_b32 a13, 0
	v_accvgpr_write_b32 a12, 0
	v_accvgpr_write_b32 a11, 0
	v_accvgpr_write_b32 a10, 0
	v_accvgpr_write_b32 a9, 0
	v_accvgpr_write_b32 a8, 0
	v_accvgpr_write_b32 a7, 0
	v_accvgpr_write_b32 a6, 0
	v_accvgpr_write_b32 a5, 0
	v_accvgpr_write_b32 a4, 0
	v_accvgpr_write_b32 a3, 0
	v_accvgpr_write_b32 a2, 0
	v_accvgpr_write_b32 a1, 0
	v_accvgpr_write_b32 a0, 0
	s_mov_b32 s6, s16
.LBB2_11:                               ; =>This Inner Loop Header: Depth=1
	v_add_u32_e32 v11, v14, v52
	v_add_u32_e32 v12, v11, v45
	s_waitcnt lgkmcnt(0)
	s_barrier
	s_waitcnt vmcnt(14)
	ds_write_b128 v11, v[214:217]
	v_mfma_f32_16x16x128_f8f6f4 a[220:223], v[158:165], v[110:117], a[220:223]
	buffer_load_dwordx4 v[214:217], v9, s[0:3], 0 offen
	v_add_u32_e32 v13, s23, v9
	v_accvgpr_read_b32 v222, a36
	v_accvgpr_read_b32 v225, a39
	;; [unrolled: 1-line block ×5, first 2 shown]
	v_mfma_f32_16x16x128_f8f6f4 a[216:219], v[158:165], v[102:109], a[216:219]
	s_waitcnt vmcnt(14)
	ds_write_b128 v12, v[32:35]
	v_add_u32_e32 v12, v12, v46
	v_accvgpr_read_b32 v228, a34
	v_accvgpr_write_b32 a34, v222
	v_accvgpr_read_b32 v226, a32
	v_accvgpr_mov_b32 a38, a40
	v_accvgpr_read_b32 v227, a33
	v_mfma_f32_16x16x128_f8f6f4 a[212:215], v[158:165], v[94:101], a[212:215]
	buffer_load_dwordx4 v[32:35], v13, s[0:3], 0 offen
	v_add_u32_e32 v13, s23, v13
	v_accvgpr_write_b32 a35, v223
	v_accvgpr_write_b32 a36, v224
	;; [unrolled: 1-line block ×3, first 2 shown]
	v_accvgpr_read_b32 v225, a31
	v_accvgpr_read_b32 v224, a30
	v_mfma_f32_16x16x128_f8f6f4 a[208:211], v[158:165], v[86:93], a[208:211]
	s_waitcnt vmcnt(14)
	ds_write_b128 v12, v[166:169]
	v_add_u32_e32 v12, v12, v47
	v_accvgpr_write_b32 a30, v226
	v_accvgpr_mov_b32 a39, a41
	v_accvgpr_mov_b32 a40, a42
	;; [unrolled: 1-line block ×3, first 2 shown]
	v_accvgpr_write_b32 a31, v227
	v_mfma_f32_16x16x128_f8f6f4 a[96:99], v[118:125], v[94:101], a[96:99]
	buffer_load_dwordx4 v[166:169], v13, s[0:3], 0 offen
	v_add_u32_e32 v13, s23, v13
	v_accvgpr_write_b32 a32, v228
	v_accvgpr_write_b32 a33, v229
	v_accvgpr_read_b32 v222, a28
	v_accvgpr_read_b32 v223, a29
	;; [unrolled: 1-line block ×3, first 2 shown]
	v_mfma_f32_16x16x128_f8f6f4 a[64:67], v[118:125], v[24:31], a[64:67]
	s_waitcnt vmcnt(14)
	ds_write_b128 v12, v[170:173]
	v_add_u32_e32 v12, v12, v48
	v_accvgpr_read_b32 v52, a200
	; sched_group_barrier mask(0x00000200) size(1) SyncID(0)
	; sched_group_barrier mask(0x00000008) size(1) SyncID(0)
	;; [unrolled: 1-line block ×13, first 2 shown]
	v_mfma_f32_16x16x128_f8f6f4 a[128:131], v[118:125], v[86:93], a[128:131]
	buffer_load_dwordx4 v[170:173], v13, s[0:3], 0 offen
	v_add_u32_e32 v13, s23, v13
	; sched_group_barrier mask(0x00000008) size(1) SyncID(0)
	; sched_group_barrier mask(0x00000020) size(1) SyncID(0)
	v_mfma_f32_16x16x128_f8f6f4 a[68:71], v[118:125], v[62:69], a[68:71]
	s_waitcnt vmcnt(14)
	ds_write_b128 v12, v[174:177]
	v_add_u32_e32 v12, v12, v49
	; sched_group_barrier mask(0x00000008) size(1) SyncID(0)
	; sched_group_barrier mask(0x00000200) size(1) SyncID(0)
	v_mfma_f32_16x16x128_f8f6f4 a[76:79], v[118:125], v[78:85], a[76:79]
	buffer_load_dwordx4 v[174:177], v13, s[0:3], 0 offen
	v_add_u32_e32 v13, s23, v13
	; sched_group_barrier mask(0x00000008) size(1) SyncID(0)
	; sched_group_barrier mask(0x00000020) size(1) SyncID(0)
	v_mfma_f32_16x16x128_f8f6f4 a[72:75], v[118:125], v[70:77], a[72:75]
	s_waitcnt vmcnt(14)
	ds_write_b128 v12, v[178:181]
	v_add_u32_e32 v12, v12, v50
	; sched_group_barrier mask(0x00000008) size(1) SyncID(0)
	; sched_group_barrier mask(0x00000200) size(1) SyncID(0)
	v_mfma_f32_16x16x128_f8f6f4 a[44:47], v[142:149], v[78:85], a[44:47]
	buffer_load_dwordx4 v[178:181], v13, s[0:3], 0 offen
	; sched_group_barrier mask(0x00000008) size(1) SyncID(0)
	; sched_group_barrier mask(0x00000020) size(1) SyncID(0)
	v_mfma_f32_16x16x128_f8f6f4 a[48:51], v[142:149], v[86:93], a[48:51]
	s_waitcnt vmcnt(14)
	ds_write_b128 v12, v[182:185]
	v_add_u32_e32 v12, s23, v13
	v_add_u32_e32 v13, s24, v8
	; sched_group_barrier mask(0x00000008) size(1) SyncID(0)
	; sched_group_barrier mask(0x00000200) size(1) SyncID(0)
	v_mfma_f32_16x16x128_f8f6f4 a[60:63], v[142:149], v[110:117], a[60:63]
	buffer_load_dwordx4 v[182:185], v12, s[0:3], 0 offen
	v_add_u32_e32 v12, v2, v7
	; sched_group_barrier mask(0x00000008) size(1) SyncID(0)
	; sched_group_barrier mask(0x00000020) size(1) SyncID(0)
	v_mfma_f32_16x16x128_f8f6f4 a[56:59], v[142:149], v[102:109], a[56:59]
	s_waitcnt vmcnt(14)
	ds_write_b128 v12, v[186:189] offset:27776
	v_add_u32_e32 v12, 0xfffffc80, v2
	v_add_u32_e32 v7, v12, v7
	;; [unrolled: 1-line block ×4, first 2 shown]
	; sched_group_barrier mask(0x00000008) size(1) SyncID(0)
	; sched_group_barrier mask(0x00000200) size(1) SyncID(0)
	v_mfma_f32_16x16x128_f8f6f4 a[52:55], v[142:149], v[94:101], a[52:55]
	buffer_load_dwordx4 v[186:189], v8, s[4:7], 0 offen
	; sched_group_barrier mask(0x00000008) size(1) SyncID(0)
	; sched_group_barrier mask(0x00000020) size(1) SyncID(0)
	v_mfma_f32_16x16x128_f8f6f4 a[40:43], v[142:149], v[70:77], a[38:41]
	s_waitcnt vmcnt(14)
	ds_write_b128 v12, v[190:193] offset:28800
	v_add_u32_e32 v12, v12, v16
	; sched_group_barrier mask(0x00000008) size(1) SyncID(0)
	; sched_group_barrier mask(0x00000200) size(1) SyncID(0)
	v_mfma_f32_16x16x128_f8f6f4 a[36:39], v[142:149], v[62:69], a[34:37]
	buffer_load_dwordx4 v[190:193], v13, s[4:7], 0 offen
	v_add_u32_e32 v13, s24, v13
	; sched_group_barrier mask(0x00000008) size(1) SyncID(0)
	; sched_group_barrier mask(0x00000020) size(1) SyncID(0)
	v_mfma_f32_16x16x128_f8f6f4 a[32:35], v[142:149], v[24:31], a[30:33]
	v_accvgpr_read_b32 v142, a24
	v_accvgpr_read_b32 v145, a27
	;; [unrolled: 1-line block ×6, first 2 shown]
	v_accvgpr_write_b32 a22, v142
	v_accvgpr_read_b32 v146, a20
	v_accvgpr_read_b32 v147, a21
	v_accvgpr_write_b32 a23, v143
	v_accvgpr_write_b32 a24, v144
	;; [unrolled: 1-line block ×3, first 2 shown]
	v_accvgpr_read_b32 v145, a19
	v_accvgpr_read_b32 v144, a18
	v_accvgpr_write_b32 a18, v146
	v_accvgpr_read_b32 v142, a16
	v_accvgpr_write_b32 a26, v222
	;; [unrolled: 2-line block ×3, first 2 shown]
	v_accvgpr_write_b32 a20, v148
	v_accvgpr_write_b32 a21, v149
	v_accvgpr_read_b32 v149, a15
	v_accvgpr_read_b32 v148, a14
	v_accvgpr_write_b32 a14, v142
	v_accvgpr_read_b32 v146, a12
	v_accvgpr_write_b32 a27, v223
	v_accvgpr_write_b32 a28, v224
	;; [unrolled: 1-line block ×3, first 2 shown]
	v_accvgpr_read_b32 v147, a13
	v_accvgpr_write_b32 a15, v143
	v_accvgpr_write_b32 a16, v144
	;; [unrolled: 1-line block ×3, first 2 shown]
	v_accvgpr_read_b32 v145, a11
	v_accvgpr_read_b32 v144, a10
	v_accvgpr_write_b32 a10, v146
	v_accvgpr_read_b32 v142, a8
	v_accvgpr_read_b32 v143, a9
	v_accvgpr_write_b32 a11, v147
	v_accvgpr_write_b32 a12, v148
	v_accvgpr_write_b32 a13, v149
	v_accvgpr_read_b32 v149, a7
	v_accvgpr_read_b32 v148, a6
	v_accvgpr_write_b32 a6, v142
	s_waitcnt vmcnt(14)
	ds_write_b128 v12, v[194:197] offset:28800
	v_mfma_f32_16x16x128_f8f6f4 a[28:31], v[54:61], v[110:117], a[26:29]
	buffer_load_dwordx4 v[194:197], v13, s[4:7], 0 offen
	v_add_u32_e32 v12, v12, v17
	v_add_u32_e32 v13, s24, v13
	v_accvgpr_write_b32 a7, v143
	v_accvgpr_write_b32 a8, v144
	;; [unrolled: 1-line block ×3, first 2 shown]
	v_accvgpr_read_b32 v146, a4
	v_mfma_f32_16x16x128_f8f6f4 a[24:27], v[54:61], v[102:109], a[22:25]
	s_waitcnt vmcnt(14)
	ds_write_b128 v12, v[198:201] offset:28800
	v_add_u32_e32 v12, v12, v22
	v_accvgpr_read_b32 v147, a5
	; sched_group_barrier mask(0x00000008) size(1) SyncID(0)
	; sched_group_barrier mask(0x00000200) size(1) SyncID(0)
	;; [unrolled: 1-line block ×6, first 2 shown]
	v_mfma_f32_16x16x128_f8f6f4 a[20:23], v[54:61], v[94:101], a[18:21]
	buffer_load_dwordx4 v[198:201], v13, s[4:7], 0 offen
	v_add_u32_e32 v13, s24, v13
	; sched_group_barrier mask(0x00000008) size(1) SyncID(0)
	; sched_group_barrier mask(0x00000020) size(1) SyncID(0)
	v_mfma_f32_16x16x128_f8f6f4 a[16:19], v[54:61], v[86:93], a[14:17]
	s_waitcnt vmcnt(14)
	ds_write_b128 v12, v[202:205] offset:28800
	v_add_u32_e32 v12, v12, v18
	; sched_group_barrier mask(0x00000008) size(1) SyncID(0)
	; sched_group_barrier mask(0x00000200) size(1) SyncID(0)
	v_mfma_f32_16x16x128_f8f6f4 a[12:15], v[54:61], v[78:85], a[10:13]
	buffer_load_dwordx4 v[202:205], v13, s[4:7], 0 offen
	v_add_u32_e32 v13, s24, v13
	; sched_group_barrier mask(0x00000008) size(1) SyncID(0)
	; sched_group_barrier mask(0x00000020) size(1) SyncID(0)
	v_mfma_f32_16x16x128_f8f6f4 a[8:11], v[54:61], v[70:77], a[6:9]
	v_accvgpr_write_b32 a4, v146
	v_accvgpr_write_b32 a5, v147
	s_waitcnt vmcnt(14)
	ds_write_b128 v12, v[206:209] offset:28800
	v_add_u32_e32 v12, v12, v10
	; sched_group_barrier mask(0x00000008) size(1) SyncID(0)
	; sched_group_barrier mask(0x00000200) size(1) SyncID(0)
	v_mfma_f32_16x16x128_f8f6f4 a[112:115], v[126:133], v[94:101], a[112:115]
	s_nop 0
	v_accvgpr_write_b32 a6, v148
	v_accvgpr_write_b32 a7, v149
	s_nop 1
	v_mfma_f32_16x16x128_f8f6f4 a[4:7], v[54:61], v[62:69], a[4:7]
	buffer_load_dwordx4 v[206:209], v13, s[4:7], 0 offen
	v_add_u32_e32 v13, s24, v13
	; sched_group_barrier mask(0x00000008) size(1) SyncID(0)
	; sched_group_barrier mask(0x00000020) size(1) SyncID(0)
	v_mfma_f32_16x16x128_f8f6f4 a[0:3], v[54:61], v[24:31], a[0:3]
	v_accvgpr_read_b32 v55, a203
	v_accvgpr_read_b32 v54, a202
	v_accvgpr_mov_b32 a200, a204
	v_accvgpr_mov_b32 a201, a205
	;; [unrolled: 1-line block ×4, first 2 shown]
	v_accvgpr_read_b32 v57, a199
	v_accvgpr_read_b32 v56, a198
	s_waitcnt vmcnt(14)
	ds_write_b128 v12, v[210:213] offset:28800
	v_mfma_f32_16x16x128_f8f6f4 a[204:207], v[158:165], v[78:85], a[200:203]
	v_accvgpr_read_b32 v59, a195
	v_accvgpr_read_b32 v58, a194
	v_add_u32_e32 v12, v12, v6
	buffer_load_dwordx4 v[210:213], v13, s[4:7], 0 offen
	; sched_group_barrier mask(0x00000008) size(1) SyncID(0)
	; sched_group_barrier mask(0x00000200) size(1) SyncID(0)
	;; [unrolled: 1-line block ×4, first 2 shown]
	v_mfma_f32_16x16x128_f8f6f4 a[124:127], v[134:141], v[24:31], a[124:127]
	s_nop 1
	v_accvgpr_write_b32 a201, v55
	v_accvgpr_write_b32 a200, v54
	;; [unrolled: 1-line block ×4, first 2 shown]
	v_accvgpr_read_b32 v55, a197
	v_accvgpr_read_b32 v54, a196
	v_accvgpr_write_b32 a197, v57
	v_mfma_f32_16x16x128_f8f6f4 a[200:203], v[158:165], v[70:77], a[198:201]
	v_accvgpr_write_b32 a196, v56
	v_accvgpr_write_b32 a195, v55
	v_accvgpr_write_b32 a194, v54
	s_waitcnt vmcnt(14)
	ds_write_b128 v12, v[218:221] offset:28800
	v_add_u32_e32 v12, s24, v13
	v_accvgpr_read_b32 v57, a193
	v_accvgpr_read_b32 v56, a192
	v_mfma_f32_16x16x128_f8f6f4 a[196:199], v[158:165], v[62:69], a[194:197]
	buffer_load_dwordx4 v[218:221], v12, s[4:7], 0 offen
	v_accvgpr_read_b32 v55, a191
	v_accvgpr_read_b32 v54, a190
	v_accvgpr_write_b32 a193, v59
	v_accvgpr_write_b32 a192, v58
	v_accvgpr_write_b32 a191, v57
	v_accvgpr_write_b32 a190, v56
	v_accvgpr_read_b32 v53, a189
	v_accvgpr_read_b32 v52, a188
	v_accvgpr_read_b32 v57, a187
	v_accvgpr_read_b32 v56, a186
	v_accvgpr_write_b32 a189, v55
	v_accvgpr_write_b32 a188, v54
	v_accvgpr_write_b32 a187, v53
	v_accvgpr_write_b32 a186, v52
	v_accvgpr_read_b32 v55, a185
	v_accvgpr_read_b32 v54, a184
	;; [unrolled: 8-line block ×11, first 2 shown]
	v_accvgpr_read_b32 v59, a147
	v_accvgpr_read_b32 v58, a146
	v_accvgpr_write_b32 a149, v57
	v_accvgpr_write_b32 a148, v56
	;; [unrolled: 1-line block ×4, first 2 shown]
	v_mfma_f32_16x16x128_f8f6f4 a[192:195], v[158:165], v[24:31], a[190:193]
	v_accvgpr_read_b32 v57, a145
	v_accvgpr_read_b32 v56, a144
	s_waitcnt lgkmcnt(0)
	s_barrier
	ds_read_b128 v[158:161], v43
	ds_read_b128 v[162:165], v3
	v_add_u32_e32 v52, v11, v51
	v_mfma_f32_16x16x128_f8f6f4 a[188:191], v[150:157], v[110:117], a[186:189]
	ds_read_b128 v[142:145], v43 offset:20480
	ds_read_b128 v[146:149], v3 offset:20480
	; sched_group_barrier mask(0x00000008) size(1) SyncID(0)
	; sched_group_barrier mask(0x00000200) size(1) SyncID(0)
	;; [unrolled: 1-line block ×8, first 2 shown]
	v_mfma_f32_16x16x128_f8f6f4 a[184:187], v[150:157], v[102:109], a[182:185]
	; sched_group_barrier mask(0x00000008) size(1) SyncID(0)
	v_mfma_f32_16x16x128_f8f6f4 a[120:123], v[126:133], v[110:117], a[120:123]
	v_mfma_f32_16x16x128_f8f6f4 a[116:119], v[126:133], v[102:109], a[116:119]
	;; [unrolled: 1-line block ×4, first 2 shown]
	ds_read_b128 v[118:121], v43 offset:16384
	ds_read_b128 v[122:125], v3 offset:16384
	; sched_group_barrier mask(0x00000100) size(2) SyncID(0)
	v_mfma_f32_16x16x128_f8f6f4 a[180:183], v[150:157], v[94:101], a[178:181]
	; sched_group_barrier mask(0x00000008) size(1) SyncID(0)
	v_mfma_f32_16x16x128_f8f6f4 a[108:111], v[126:133], v[86:93], a[108:111]
	v_mfma_f32_16x16x128_f8f6f4 a[104:107], v[126:133], v[78:85], a[104:107]
	;; [unrolled: 1-line block ×5, first 2 shown]
	ds_read_b128 v[126:129], v43 offset:12288
	ds_read_b128 v[130:133], v3 offset:12288
	; sched_group_barrier mask(0x00000100) size(2) SyncID(0)
	v_mfma_f32_16x16x128_f8f6f4 a[176:179], v[150:157], v[86:93], a[174:177]
	; sched_group_barrier mask(0x00000008) size(1) SyncID(0)
	v_mfma_f32_16x16x128_f8f6f4 a[172:175], v[150:157], v[78:85], a[170:173]
	v_mfma_f32_16x16x128_f8f6f4 a[168:171], v[150:157], v[70:77], a[166:169]
	;; [unrolled: 1-line block ×4, first 2 shown]
	ds_read_b128 v[24:27], v44 offset:57344
	ds_read_b128 v[28:31], v4 offset:57344
	; sched_group_barrier mask(0x00000100) size(2) SyncID(0)
	; sched_group_barrier mask(0x00000008) size(1) SyncID(0)
	v_mfma_f32_16x16x128_f8f6f4 a[132:135], v[134:141], v[62:69], a[132:135]
	ds_read_b128 v[62:65], v44 offset:53248
	ds_read_b128 v[66:69], v4 offset:53248
	; sched_group_barrier mask(0x00000100) size(2) SyncID(0)
	; sched_group_barrier mask(0x00000008) size(1) SyncID(0)
	v_mfma_f32_16x16x128_f8f6f4 a[136:139], v[134:141], v[70:77], a[136:139]
	;; [unrolled: 5-line block ×3, first 2 shown]
	ds_read_b128 v[78:81], v44 offset:45056
	ds_read_b128 v[82:85], v4 offset:45056
	;; [unrolled: 1-line block ×4, first 2 shown]
	; sched_group_barrier mask(0x00000100) size(2) SyncID(0)
	; sched_group_barrier mask(0x00000008) size(1) SyncID(0)
	;; [unrolled: 1-line block ×3, first 2 shown]
	v_mfma_f32_16x16x128_f8f6f4 a[156:159], v[134:141], v[110:117], a[154:157]
	ds_read_b128 v[110:113], v44 offset:28672
	ds_read_b128 v[114:117], v4 offset:28672
	; sched_group_barrier mask(0x00000008) size(1) SyncID(0)
	; sched_group_barrier mask(0x00000100) size(2) SyncID(0)
	v_mfma_f32_16x16x128_f8f6f4 a[152:155], v[134:141], v[102:109], a[150:153]
	ds_read_b128 v[102:105], v44 offset:32768
	ds_read_b128 v[106:109], v4 offset:32768
	; sched_group_barrier mask(0x00000008) size(1) SyncID(0)
	; sched_group_barrier mask(0x00000100) size(2) SyncID(0)
	v_mfma_f32_16x16x128_f8f6f4 a[148:151], v[134:141], v[94:101], a[146:149]
	; sched_group_barrier mask(0x00000008) size(1) SyncID(0)
	s_nop 6
	v_accvgpr_write_b32 a147, v59
	v_accvgpr_write_b32 a146, v58
	;; [unrolled: 1-line block ×4, first 2 shown]
	ds_read_b128 v[54:57], v43 offset:24576
	ds_read_b128 v[58:61], v3 offset:24576
	v_mfma_f32_16x16x128_f8f6f4 a[144:147], v[134:141], v[86:93], a[144:147]
	ds_read_b128 v[94:97], v44 offset:36864
	ds_read_b128 v[98:101], v4 offset:36864
	;; [unrolled: 1-line block ×6, first 2 shown]
	; sched_group_barrier mask(0x00000100) size(2) SyncID(0)
	; sched_group_barrier mask(0x00000008) size(1) SyncID(0)
	; sched_group_barrier mask(0x00000100) size(2) SyncID(0)
	; sched_group_barrier mask(0x00000008) size(1) SyncID(0)
	; sched_group_barrier mask(0x00000100) size(2) SyncID(0)
	; sched_group_barrier mask(0x00000008) size(1) SyncID(0)
	; sched_group_barrier mask(0x00000100) size(2) SyncID(0)
	; sched_group_barrier mask(0x00000008) size(1) SyncID(0)
	; sched_barrier mask(0x00000000)
	s_add_i32 s15, s15, -1
	v_add_u32_e32 v8, 0x80, v8
	s_cmp_lg_u32 s15, 0
	v_add_u32_e32 v9, 0x80, v9
	s_cbranch_scc1 .LBB2_11
; %bb.12:
	s_waitcnt lgkmcnt(10)
	v_mfma_f32_16x16x128_f8f6f4 a[220:223], v[158:165], v[110:117], a[220:223]
	s_lshl_b64 s[0:1], s[10:11], 1
	v_lshlrev_b32_e32 v0, 3, v0
	s_add_u32 s28, s8, s0
	v_and_b32_e32 v4, 56, v0
	s_addc_u32 s0, s9, s1
	s_mul_i32 s1, s12, s25
	s_mul_hi_u32 s2, 0, s25
	v_and_b32_e32 v1, 12, v1
	v_or_b32_e32 v6, s14, v4
	s_waitcnt lgkmcnt(8)
	v_mfma_f32_16x16x128_f8f6f4 a[216:219], v[158:165], v[102:109], a[216:219]
	v_or_b32_e32 v3, s13, v42
	s_add_i32 s1, s2, s1
	v_and_or_b32 v2, v42, 16, v1
	v_mad_u64_u32 v[0:1], s[2:3], v3, s25, v[6:7]
	v_accvgpr_read_b32 v1, a220
	v_cvt_f16_f32_e32 v5, v1
	v_lshlrev_b32_e32 v1, 1, v39
	v_lshl_or_b32 v1, v2, 7, v1
	v_accvgpr_read_b32 v2, a221
	v_cvt_f16_f32_e32 v2, v2
	v_accvgpr_read_b32 v7, a222
	v_cvt_f16_f32_e32 v7, v7
	v_accvgpr_read_b32 v8, a223
	v_lshl_add_u32 v1, v41, 1, v1
	v_cvt_f16_f32_e32 v8, v8
	s_waitcnt lgkmcnt(0)
	s_barrier
	ds_write_b16 v1, v5
	ds_write_b16 v1, v2 offset:128
	ds_write_b16 v1, v7 offset:256
	ds_write_b16 v1, v8 offset:384
	v_accvgpr_read_b32 v2, a219
	v_cvt_f16_f32_e32 v2, v2
	v_accvgpr_read_b32 v5, a218
	v_cvt_f16_f32_e32 v5, v5
	;; [unrolled: 2-line block ×4, first 2 shown]
	ds_write_b16 v1, v2 offset:448
	ds_write_b16 v1, v5 offset:320
	;; [unrolled: 1-line block ×4, first 2 shown]
	v_lshlrev_b32_e32 v2, 1, v4
	v_lshl_or_b32 v2, v42, 7, v2
	v_mfma_f32_16x16x128_f8f6f4 a[212:215], v[158:165], v[94:101], a[212:215]
	s_waitcnt lgkmcnt(0)
	s_barrier
	ds_read_b128 v[8:11], v2
	v_cmp_gt_i32_e32 vcc, s21, v6
	v_cmp_gt_i32_e64 s[14:15], s20, v3
	s_add_i32 s1, s21, s1
	s_lshl_b32 s30, s1, 1
	s_and_b32 s29, s0, 0xffff
	v_bfrev_b32_e32 v4, 1
	s_and_b64 s[0:1], s[14:15], vcc
	v_lshlrev_b32_e32 v5, 1, v0
	v_cndmask_b32_e64 v7, v4, 0, s[0:1]
	s_mov_b32 s31, 0x20000
	v_add_u32_e32 v7, v7, v5
	v_mfma_f32_16x16x128_f8f6f4 a[208:211], v[158:165], v[86:93], a[208:211]
	s_waitcnt lgkmcnt(0)
	buffer_store_dwordx2 v[8:9], v7, s[28:31], 0 offen
	v_or_b32_e32 v7, 4, v6
	v_cmp_gt_i32_e64 s[0:1], s21, v7
	s_and_b64 s[2:3], s[14:15], s[0:1]
	v_cndmask_b32_e64 v7, v4, 0, s[2:3]
	v_accvgpr_read_b32 v8, a212
	v_add_u32_e32 v7, v5, v7
	v_cvt_f16_f32_e32 v8, v8
	v_accvgpr_read_b32 v9, a213
	buffer_store_dwordx2 v[10:11], v7, s[28:31], 0 offen offset:8
	v_cvt_f16_f32_e32 v9, v9
	v_accvgpr_read_b32 v10, a214
	v_cvt_f16_f32_e32 v10, v10
	v_accvgpr_read_b32 v11, a215
	v_cvt_f16_f32_e32 v11, v11
	s_waitcnt lgkmcnt(0)
	s_barrier
	ds_write_b16 v1, v8
	ds_write_b16 v1, v9 offset:128
	ds_write_b16 v1, v10 offset:256
	;; [unrolled: 1-line block ×3, first 2 shown]
	v_accvgpr_read_b32 v8, a211
	v_cvt_f16_f32_e32 v8, v8
	v_accvgpr_read_b32 v9, a210
	v_cvt_f16_f32_e32 v9, v9
	;; [unrolled: 2-line block ×4, first 2 shown]
	v_mfma_f32_16x16x128_f8f6f4 a[204:207], v[158:165], v[78:85], a[204:207]
	v_or_b32_e32 v7, 64, v6
	ds_write_b16 v1, v8 offset:448
	ds_write_b16 v1, v9 offset:320
	;; [unrolled: 1-line block ×4, first 2 shown]
	s_waitcnt lgkmcnt(0)
	s_barrier
	ds_read_b128 v[8:11], v2
	v_cmp_gt_i32_e64 s[2:3], s21, v7
	s_and_b64 s[4:5], s[14:15], s[2:3]
	v_cndmask_b32_e64 v7, v4, 0, s[4:5]
	v_add_u32_e32 v7, v5, v7
	v_mfma_f32_16x16x128_f8f6f4 a[200:203], v[158:165], v[70:77], a[200:203]
	s_waitcnt lgkmcnt(0)
	buffer_store_dwordx2 v[8:9], v7, s[28:31], 0 offen offset:128
	v_or_b32_e32 v7, 0x44, v6
	v_cmp_gt_i32_e64 s[4:5], s21, v7
	s_and_b64 s[6:7], s[14:15], s[4:5]
	v_cndmask_b32_e64 v7, v4, 0, s[6:7]
	v_accvgpr_read_b32 v8, a204
	v_add_u32_e32 v7, v5, v7
	v_cvt_f16_f32_e32 v8, v8
	v_accvgpr_read_b32 v9, a205
	buffer_store_dwordx2 v[10:11], v7, s[28:31], 0 offen offset:136
	v_cvt_f16_f32_e32 v9, v9
	v_accvgpr_read_b32 v10, a206
	v_cvt_f16_f32_e32 v10, v10
	v_accvgpr_read_b32 v11, a207
	v_cvt_f16_f32_e32 v11, v11
	s_waitcnt lgkmcnt(0)
	s_barrier
	ds_write_b16 v1, v8
	ds_write_b16 v1, v9 offset:128
	ds_write_b16 v1, v10 offset:256
	;; [unrolled: 1-line block ×3, first 2 shown]
	v_accvgpr_read_b32 v8, a203
	v_cvt_f16_f32_e32 v8, v8
	v_accvgpr_read_b32 v9, a202
	v_cvt_f16_f32_e32 v9, v9
	;; [unrolled: 2-line block ×4, first 2 shown]
	v_or_b32_e32 v7, 0x80, v6
	ds_write_b16 v1, v8 offset:448
	ds_write_b16 v1, v9 offset:320
	;; [unrolled: 1-line block ×4, first 2 shown]
	s_waitcnt lgkmcnt(0)
	s_barrier
	ds_read_b128 v[8:11], v2
	v_mfma_f32_16x16x128_f8f6f4 a[196:199], v[158:165], v[62:69], a[196:199]
	v_cmp_gt_i32_e64 s[6:7], s21, v7
	s_and_b64 s[8:9], s[14:15], s[6:7]
	v_cndmask_b32_e64 v7, v4, 0, s[8:9]
	v_add_u32_e32 v7, v5, v7
	s_waitcnt lgkmcnt(0)
	buffer_store_dwordx2 v[8:9], v7, s[28:31], 0 offen offset:256
	v_or_b32_e32 v7, 0x84, v6
	v_cmp_gt_i32_e64 s[8:9], s21, v7
	s_and_b64 s[10:11], s[14:15], s[8:9]
	v_mfma_f32_16x16x128_f8f6f4 a[192:195], v[158:165], v[24:31], a[192:195]
	v_cndmask_b32_e64 v7, v4, 0, s[10:11]
	v_add_u32_e32 v7, v5, v7
	buffer_store_dwordx2 v[10:11], v7, s[28:31], 0 offen offset:264
	v_accvgpr_read_b32 v9, a196
	v_cvt_f16_f32_e32 v9, v9
	v_accvgpr_read_b32 v10, a197
	v_cvt_f16_f32_e32 v10, v10
	s_waitcnt lgkmcnt(0)
	s_barrier
	ds_write_b16 v1, v9
	ds_write_b16 v1, v10 offset:128
	v_accvgpr_read_b32 v9, a198
	v_cvt_f16_f32_e32 v9, v9
	v_accvgpr_read_b32 v10, a199
	v_mfma_f32_16x16x128_f8f6f4 a[208:211], v[150:157], v[62:69], a[164:167]
	v_cvt_f16_f32_e32 v10, v10
	v_accvgpr_read_b32 v11, a195
	v_cvt_f16_f32_e32 v11, v11
	v_or_b32_e32 v7, 0xc0, v6
	ds_write_b16 v1, v9 offset:256
	ds_write_b16 v1, v10 offset:384
	v_accvgpr_read_b32 v9, a194
	v_cmp_gt_i32_e64 s[10:11], s21, v7
	v_cvt_f16_f32_e32 v9, v9
	v_accvgpr_read_b32 v10, a193
	s_and_b64 s[12:13], s[14:15], s[10:11]
	v_or_b32_e32 v6, 0xc4, v6
	ds_write_b16 v1, v11 offset:448
	v_cvt_f16_f32_e32 v10, v10
	v_accvgpr_read_b32 v11, a192
	v_cndmask_b32_e64 v7, v4, 0, s[12:13]
	v_cmp_gt_i32_e64 s[12:13], s21, v6
	v_cvt_f16_f32_e32 v11, v11
	s_and_b64 s[14:15], s[14:15], s[12:13]
	v_cndmask_b32_e64 v6, v4, 0, s[14:15]
	v_mfma_f32_16x16x128_f8f6f4 a[212:215], v[150:157], v[24:31], a[160:163]
	ds_write_b16 v1, v9 offset:320
	ds_write_b16 v1, v10 offset:192
	;; [unrolled: 1-line block ×3, first 2 shown]
	s_waitcnt lgkmcnt(0)
	s_barrier
	ds_read_b128 v[10:13], v2
	v_add_u32_e32 v5, v5, v6
	v_accvgpr_read_b32 v6, a208
	v_cvt_f16_f32_e32 v6, v6
	v_add_u32_e32 v8, 0xc0, v0
	v_lshl_add_u32 v7, v8, 1, v7
	s_waitcnt lgkmcnt(0)
	buffer_store_dwordx2 v[10:11], v7, s[28:31], 0 offen
	buffer_store_dwordx2 v[12:13], v5, s[28:31], 0 offen offset:392
	s_waitcnt lgkmcnt(0)
	s_barrier
	ds_write_b16 v1, v6
	v_accvgpr_read_b32 v6, a209
	v_cvt_f16_f32_e32 v6, v6
	v_accvgpr_read_b32 v7, a210
	v_cvt_f16_f32_e32 v7, v7
	v_accvgpr_read_b32 v9, a211
	v_cvt_f16_f32_e32 v9, v9
	v_accvgpr_read_b32 v10, a215
	v_cvt_f16_f32_e32 v10, v10
	ds_write_b16 v1, v6 offset:128
	ds_write_b16 v1, v7 offset:256
	;; [unrolled: 1-line block ×4, first 2 shown]
	v_accvgpr_read_b32 v6, a214
	v_accvgpr_read_b32 v7, a213
	v_mfma_f32_16x16x128_f8f6f4 a[172:175], v[150:157], v[78:85], a[172:175]
	v_cvt_f16_f32_e32 v6, v6
	v_cvt_f16_f32_e32 v7, v7
	v_accvgpr_read_b32 v9, a212
	v_cvt_f16_f32_e32 v9, v9
	v_add_u32_e32 v5, 32, v3
	ds_write_b16 v1, v6 offset:320
	ds_write_b16 v1, v7 offset:192
	;; [unrolled: 1-line block ×3, first 2 shown]
	s_waitcnt lgkmcnt(0)
	s_barrier
	ds_read_b128 v[10:13], v2
	v_cmp_gt_i32_e64 s[14:15], s20, v5
	s_lshl_b32 s18, s25, 5
	s_and_b64 s[16:17], s[14:15], s[10:11]
	v_add_lshl_u32 v14, v8, s18, 1
	v_cndmask_b32_e64 v5, v4, 0, s[16:17]
	v_add_u32_e32 v5, v14, v5
	v_accvgpr_read_b32 v7, a172
	v_mfma_f32_16x16x128_f8f6f4 a[168:171], v[150:157], v[70:77], a[168:171]
	s_waitcnt lgkmcnt(0)
	buffer_store_dwordx2 v[10:11], v5, s[28:31], 0 offen
	v_mov_b32_e32 v5, 0x80000008
	s_and_b64 s[16:17], s[14:15], s[12:13]
	v_cvt_f16_f32_e32 v7, v7
	v_cndmask_b32_e64 v6, v5, 8, s[16:17]
	v_add_u32_e32 v6, v14, v6
	buffer_store_dwordx2 v[12:13], v6, s[28:31], 0 offen
	v_accvgpr_read_b32 v6, a173
	s_waitcnt lgkmcnt(0)
	s_barrier
	ds_write_b16 v1, v7
	v_cvt_f16_f32_e32 v6, v6
	v_accvgpr_read_b32 v7, a174
	v_cvt_f16_f32_e32 v7, v7
	v_accvgpr_read_b32 v8, a175
	v_cvt_f16_f32_e32 v8, v8
	ds_write_b16 v1, v6 offset:128
	v_accvgpr_read_b32 v6, a171
	ds_write_b16 v1, v7 offset:256
	ds_write_b16 v1, v8 offset:384
	v_cvt_f16_f32_e32 v6, v6
	v_accvgpr_read_b32 v7, a170
	v_mfma_f32_16x16x128_f8f6f4 a[180:183], v[150:157], v[94:101], a[180:183]
	v_cvt_f16_f32_e32 v7, v7
	v_accvgpr_read_b32 v8, a169
	v_cvt_f16_f32_e32 v8, v8
	v_accvgpr_read_b32 v9, a168
	v_cvt_f16_f32_e32 v9, v9
	ds_write_b16 v1, v6 offset:448
	ds_write_b16 v1, v7 offset:320
	;; [unrolled: 1-line block ×4, first 2 shown]
	s_waitcnt lgkmcnt(0)
	s_barrier
	ds_read_b128 v[10:13], v2
	v_mov_b32_e32 v6, 0x7fffff80
	v_mov_b32_e32 v7, 0xffffff80
	s_and_b64 s[16:17], s[14:15], s[6:7]
	v_cndmask_b32_e64 v8, v6, v7, s[16:17]
	v_add_u32_e32 v8, v14, v8
	s_waitcnt lgkmcnt(0)
	buffer_store_dwordx2 v[10:11], v8, s[28:31], 0 offen
	v_accvgpr_read_b32 v11, a180
	v_mfma_f32_16x16x128_f8f6f4 a[176:179], v[150:157], v[86:93], a[176:179]
	v_mov_b32_e32 v8, 0x7fffff88
	v_mov_b32_e32 v9, 0xffffff88
	s_and_b64 s[16:17], s[14:15], s[8:9]
	v_cvt_f16_f32_e32 v11, v11
	v_cndmask_b32_e64 v10, v8, v9, s[16:17]
	v_add_u32_e32 v10, v14, v10
	buffer_store_dwordx2 v[12:13], v10, s[28:31], 0 offen
	v_accvgpr_read_b32 v10, a181
	s_waitcnt lgkmcnt(0)
	s_barrier
	ds_write_b16 v1, v11
	v_cvt_f16_f32_e32 v10, v10
	v_accvgpr_read_b32 v11, a182
	v_cvt_f16_f32_e32 v11, v11
	v_accvgpr_read_b32 v12, a183
	v_cvt_f16_f32_e32 v12, v12
	ds_write_b16 v1, v10 offset:128
	ds_write_b16 v1, v11 offset:256
	v_accvgpr_read_b32 v10, a179
	v_cvt_f16_f32_e32 v10, v10
	v_accvgpr_read_b32 v11, a178
	ds_write_b16 v1, v12 offset:384
	v_cvt_f16_f32_e32 v11, v11
	v_accvgpr_read_b32 v12, a177
	v_cvt_f16_f32_e32 v12, v12
	v_accvgpr_read_b32 v13, a176
	v_cvt_f16_f32_e32 v13, v13
	v_mfma_f32_16x16x128_f8f6f4 a[188:191], v[150:157], v[110:117], a[188:191]
	ds_write_b16 v1, v10 offset:448
	ds_write_b16 v1, v11 offset:320
	;; [unrolled: 1-line block ×4, first 2 shown]
	s_waitcnt lgkmcnt(0)
	s_barrier
	ds_read_b128 v[16:19], v2
	v_mov_b32_e32 v10, 0x7fffff00
	v_mov_b32_e32 v11, 0xffffff00
	s_and_b64 s[16:17], s[14:15], s[2:3]
	v_cndmask_b32_e64 v12, v10, v11, s[16:17]
	v_add_u32_e32 v12, v14, v12
	s_waitcnt lgkmcnt(0)
	buffer_store_dwordx2 v[16:17], v12, s[28:31], 0 offen
	v_mov_b32_e32 v12, 0x7fffff08
	v_mov_b32_e32 v13, 0xffffff08
	s_and_b64 s[16:17], s[14:15], s[4:5]
	v_cndmask_b32_e64 v15, v12, v13, s[16:17]
	v_add_u32_e32 v14, v14, v15
	buffer_store_dwordx2 v[18:19], v14, s[28:31], 0 offen
	v_accvgpr_read_b32 v14, a188
	v_cvt_f16_f32_e32 v14, v14
	v_mfma_f32_16x16x128_f8f6f4 a[184:187], v[150:157], v[102:109], a[184:187]
	s_waitcnt lgkmcnt(0)
	s_barrier
	ds_write_b16 v1, v14
	v_accvgpr_read_b32 v14, a189
	v_cvt_f16_f32_e32 v14, v14
	v_accvgpr_read_b32 v15, a190
	v_cvt_f16_f32_e32 v15, v15
	;; [unrolled: 2-line block ×3, first 2 shown]
	ds_write_b16 v1, v14 offset:128
	ds_write_b16 v1, v15 offset:256
	v_mfma_f32_16x16x128_f8f6f4 a[164:167], v[134:141], v[110:117], a[156:159]
	v_accvgpr_read_b32 v14, a187
	v_cvt_f16_f32_e32 v14, v14
	v_accvgpr_read_b32 v15, a186
	ds_write_b16 v1, v16 offset:384
	v_cvt_f16_f32_e32 v15, v15
	v_accvgpr_read_b32 v16, a185
	v_cvt_f16_f32_e32 v16, v16
	v_accvgpr_read_b32 v17, a184
	v_cvt_f16_f32_e32 v17, v17
	ds_write_b16 v1, v14 offset:448
	ds_write_b16 v1, v15 offset:320
	;; [unrolled: 1-line block ×4, first 2 shown]
	s_waitcnt lgkmcnt(0)
	s_barrier
	ds_read_b128 v[16:19], v2
	v_mfma_f32_16x16x128_f8f6f4 a[160:163], v[134:141], v[102:109], a[152:155]
	v_add_u32_e32 v0, s18, v0
	s_and_b64 s[16:17], vcc, s[14:15]
	v_lshlrev_b32_e32 v14, 1, v0
	v_cndmask_b32_e64 v15, v4, 0, s[16:17]
	v_add_u32_e32 v15, v15, v14
	s_and_b64 s[14:15], s[14:15], s[0:1]
	s_waitcnt lgkmcnt(0)
	buffer_store_dwordx2 v[16:17], v15, s[28:31], 0 offen
	v_cndmask_b32_e64 v15, v4, 0, s[14:15]
	v_add_u32_e32 v23, s18, v0
	v_accvgpr_read_b32 v0, a164
	v_add_u32_e32 v14, v14, v15
	v_cvt_f16_f32_e32 v0, v0
	v_accvgpr_read_b32 v15, a165
	v_cvt_f16_f32_e32 v15, v15
	v_accvgpr_read_b32 v16, a166
	;; [unrolled: 2-line block ×3, first 2 shown]
	v_cvt_f16_f32_e32 v17, v17
	buffer_store_dwordx2 v[18:19], v14, s[28:31], 0 offen offset:8
	s_waitcnt lgkmcnt(0)
	s_barrier
	ds_write_b16 v1, v0
	ds_write_b16 v1, v15 offset:128
	ds_write_b16 v1, v16 offset:256
	;; [unrolled: 1-line block ×3, first 2 shown]
	v_accvgpr_read_b32 v0, a163
	v_cvt_f16_f32_e32 v0, v0
	v_accvgpr_read_b32 v15, a162
	v_cvt_f16_f32_e32 v15, v15
	;; [unrolled: 2-line block ×3, first 2 shown]
	v_accvgpr_read_b32 v17, a160
	v_mfma_f32_16x16x128_f8f6f4 a[156:159], v[134:141], v[94:101], a[148:151]
	v_cvt_f16_f32_e32 v17, v17
	v_add_u32_e32 v14, 64, v3
	ds_write_b16 v1, v0 offset:448
	ds_write_b16 v1, v15 offset:320
	;; [unrolled: 1-line block ×4, first 2 shown]
	s_waitcnt lgkmcnt(0)
	s_barrier
	ds_read_b128 v[16:19], v2
	v_cmp_gt_i32_e64 s[14:15], s20, v14
	s_and_b64 s[16:17], vcc, s[14:15]
	s_waitcnt vmcnt(29)
	v_lshlrev_b32_e32 v32, 1, v23
	v_cndmask_b32_e64 v0, v4, 0, s[16:17]
	v_mfma_f32_16x16x128_f8f6f4 a[152:155], v[134:141], v[86:93], a[144:147]
	v_add_u32_e32 v0, v32, v0
	s_and_b64 s[16:17], s[14:15], s[0:1]
	s_waitcnt lgkmcnt(0)
	buffer_store_dwordx2 v[16:17], v0, s[28:31], 0 offen
	v_cndmask_b32_e64 v0, v5, 8, s[16:17]
	v_add_u32_e32 v0, v32, v0
	buffer_store_dwordx2 v[18:19], v0, s[28:31], 0 offen
	v_accvgpr_read_b32 v0, a156
	v_cvt_f16_f32_e32 v0, v0
	v_accvgpr_read_b32 v14, a157
	v_cvt_f16_f32_e32 v14, v14
	v_accvgpr_read_b32 v15, a158
	v_cvt_f16_f32_e32 v15, v15
	v_accvgpr_read_b32 v16, a159
	v_cvt_f16_f32_e32 v16, v16
	s_waitcnt lgkmcnt(0)
	s_barrier
	ds_write_b16 v1, v0
	ds_write_b16 v1, v14 offset:128
	ds_write_b16 v1, v15 offset:256
	;; [unrolled: 1-line block ×3, first 2 shown]
	v_accvgpr_read_b32 v0, a155
	v_cvt_f16_f32_e32 v0, v0
	v_accvgpr_read_b32 v14, a154
	v_cvt_f16_f32_e32 v14, v14
	;; [unrolled: 2-line block ×4, first 2 shown]
	v_mfma_f32_16x16x128_f8f6f4 a[148:151], v[134:141], v[78:85], a[140:143]
	ds_write_b16 v1, v0 offset:448
	ds_write_b16 v1, v14 offset:320
	;; [unrolled: 1-line block ×4, first 2 shown]
	s_waitcnt lgkmcnt(0)
	s_barrier
	ds_read_b128 v[16:19], v2
	v_mov_b32_e32 v0, 0x80000080
	v_mov_b32_e32 v14, 0x80
	s_and_b64 s[16:17], s[14:15], s[2:3]
	v_cndmask_b32_e64 v15, v0, v14, s[16:17]
	v_add_u32_e32 v15, v32, v15
	v_mfma_f32_16x16x128_f8f6f4 a[144:147], v[134:141], v[70:77], a[136:139]
	s_waitcnt lgkmcnt(0)
	buffer_store_dwordx2 v[16:17], v15, s[28:31], 0 offen
	v_mov_b32_e32 v15, 0x80000088
	v_mov_b32_e32 v16, 0x88
	s_and_b64 s[16:17], s[14:15], s[4:5]
	v_cndmask_b32_e64 v17, v15, v16, s[16:17]
	v_add_u32_e32 v17, v32, v17
	buffer_store_dwordx2 v[18:19], v17, s[28:31], 0 offen
	v_accvgpr_read_b32 v17, a148
	v_cvt_f16_f32_e32 v17, v17
	v_accvgpr_read_b32 v18, a149
	v_cvt_f16_f32_e32 v18, v18
	;; [unrolled: 2-line block ×4, first 2 shown]
	s_waitcnt lgkmcnt(0)
	s_barrier
	ds_write_b16 v1, v17
	ds_write_b16 v1, v18 offset:128
	ds_write_b16 v1, v19 offset:256
	;; [unrolled: 1-line block ×3, first 2 shown]
	v_accvgpr_read_b32 v17, a147
	v_cvt_f16_f32_e32 v17, v17
	v_accvgpr_read_b32 v18, a146
	v_cvt_f16_f32_e32 v18, v18
	;; [unrolled: 2-line block ×4, first 2 shown]
	v_mfma_f32_16x16x128_f8f6f4 a[132:135], v[134:141], v[62:69], a[132:135]
	ds_write_b16 v1, v17 offset:448
	ds_write_b16 v1, v18 offset:320
	;; [unrolled: 1-line block ×4, first 2 shown]
	s_waitcnt lgkmcnt(0)
	s_barrier
	ds_read_b128 v[34:37], v2
	v_mov_b32_e32 v17, 0x80000100
	v_mov_b32_e32 v18, 0x100
	s_and_b64 s[16:17], s[14:15], s[6:7]
	v_cndmask_b32_e64 v19, v17, v18, s[16:17]
	v_add_u32_e32 v19, v32, v19
	v_mfma_f32_16x16x128_f8f6f4 a[124:127], v[134:141], v[24:31], a[124:127]
	s_waitcnt lgkmcnt(0)
	buffer_store_dwordx2 v[34:35], v19, s[28:31], 0 offen
	v_mov_b32_e32 v19, 0x80000108
	v_mov_b32_e32 v20, 0x108
	s_and_b64 s[16:17], s[14:15], s[8:9]
	v_cndmask_b32_e64 v21, v19, v20, s[16:17]
	v_add_u32_e32 v21, v32, v21
	buffer_store_dwordx2 v[36:37], v21, s[28:31], 0 offen
	v_accvgpr_read_b32 v21, a132
	v_cvt_f16_f32_e32 v21, v21
	v_accvgpr_read_b32 v22, a133
	v_cvt_f16_f32_e32 v22, v22
	;; [unrolled: 2-line block ×4, first 2 shown]
	s_waitcnt lgkmcnt(0)
	s_barrier
	ds_write_b16 v1, v21
	ds_write_b16 v1, v22 offset:128
	ds_write_b16 v1, v33 offset:256
	;; [unrolled: 1-line block ×3, first 2 shown]
	v_accvgpr_read_b32 v21, a127
	v_cvt_f16_f32_e32 v21, v21
	v_accvgpr_read_b32 v22, a126
	v_cvt_f16_f32_e32 v22, v22
	;; [unrolled: 2-line block ×3, first 2 shown]
	v_accvgpr_read_b32 v34, a124
	v_mfma_f32_16x16x128_f8f6f4 a[140:143], v[126:133], v[62:69], a[92:95]
	v_cvt_f16_f32_e32 v34, v34
	ds_write_b16 v1, v21 offset:448
	ds_write_b16 v1, v22 offset:320
	ds_write_b16 v1, v33 offset:192
	ds_write_b16 v1, v34 offset:64
	s_waitcnt lgkmcnt(0)
	s_barrier
	ds_read_b128 v[34:37], v2
	s_and_b64 s[16:17], s[14:15], s[10:11]
	v_add_u32_e32 v33, 0xc0, v23
	v_cndmask_b32_e64 v21, v4, 0, s[16:17]
	v_mfma_f32_16x16x128_f8f6f4 a[136:139], v[126:133], v[24:31], a[88:91]
	v_lshl_add_u32 v21, v33, 1, v21
	s_waitcnt lgkmcnt(0)
	buffer_store_dwordx2 v[34:35], v21, s[28:31], 0 offen
	v_mov_b32_e32 v21, 0x80000188
	v_mov_b32_e32 v22, 0x188
	s_and_b64 s[14:15], s[14:15], s[12:13]
	v_cndmask_b32_e64 v34, v21, v22, s[14:15]
	v_add_u32_e32 v32, v32, v34
	v_accvgpr_read_b32 v34, a140
	v_cvt_f16_f32_e32 v34, v34
	v_accvgpr_read_b32 v35, a141
	buffer_store_dwordx2 v[36:37], v32, s[28:31], 0 offen
	v_cvt_f16_f32_e32 v35, v35
	v_accvgpr_read_b32 v36, a142
	v_cvt_f16_f32_e32 v36, v36
	v_accvgpr_read_b32 v37, a143
	v_cvt_f16_f32_e32 v37, v37
	s_waitcnt lgkmcnt(0)
	s_barrier
	ds_write_b16 v1, v34
	ds_write_b16 v1, v35 offset:128
	ds_write_b16 v1, v36 offset:256
	;; [unrolled: 1-line block ×3, first 2 shown]
	v_accvgpr_read_b32 v34, a139
	v_cvt_f16_f32_e32 v34, v34
	v_accvgpr_read_b32 v35, a138
	v_cvt_f16_f32_e32 v35, v35
	;; [unrolled: 2-line block ×3, first 2 shown]
	v_accvgpr_read_b32 v37, a136
	v_mfma_f32_16x16x128_f8f6f4 a[104:107], v[126:133], v[78:85], a[104:107]
	v_cvt_f16_f32_e32 v37, v37
	v_add_u32_e32 v32, 0x60, v3
	ds_write_b16 v1, v34 offset:448
	ds_write_b16 v1, v35 offset:320
	;; [unrolled: 1-line block ×4, first 2 shown]
	s_waitcnt lgkmcnt(0)
	s_barrier
	ds_read_b128 v[34:37], v2
	v_cmp_gt_i32_e64 s[14:15], s20, v32
	s_and_b64 s[16:17], s[14:15], s[10:11]
	v_add_lshl_u32 v32, v33, s18, 1
	v_cndmask_b32_e64 v33, v4, 0, s[16:17]
	v_mfma_f32_16x16x128_f8f6f4 a[100:103], v[126:133], v[70:77], a[100:103]
	v_add_u32_e32 v33, v32, v33
	s_and_b64 s[16:17], s[14:15], s[12:13]
	s_waitcnt lgkmcnt(0)
	buffer_store_dwordx2 v[34:35], v33, s[28:31], 0 offen
	v_cndmask_b32_e64 v33, v5, 8, s[16:17]
	v_add_u32_e32 v33, v32, v33
	buffer_store_dwordx2 v[36:37], v33, s[28:31], 0 offen
	v_accvgpr_read_b32 v33, a104
	v_cvt_f16_f32_e32 v33, v33
	v_accvgpr_read_b32 v34, a105
	v_cvt_f16_f32_e32 v34, v34
	;; [unrolled: 2-line block ×4, first 2 shown]
	s_waitcnt lgkmcnt(0)
	s_barrier
	ds_write_b16 v1, v33
	ds_write_b16 v1, v34 offset:128
	ds_write_b16 v1, v35 offset:256
	;; [unrolled: 1-line block ×3, first 2 shown]
	v_accvgpr_read_b32 v33, a103
	v_cvt_f16_f32_e32 v33, v33
	v_accvgpr_read_b32 v34, a102
	v_cvt_f16_f32_e32 v34, v34
	v_accvgpr_read_b32 v35, a101
	v_cvt_f16_f32_e32 v35, v35
	v_accvgpr_read_b32 v36, a100
	v_mfma_f32_16x16x128_f8f6f4 a[112:115], v[126:133], v[94:101], a[112:115]
	v_cvt_f16_f32_e32 v36, v36
	ds_write_b16 v1, v33 offset:448
	ds_write_b16 v1, v34 offset:320
	;; [unrolled: 1-line block ×4, first 2 shown]
	s_waitcnt lgkmcnt(0)
	s_barrier
	ds_read_b128 v[34:37], v2
	s_and_b64 s[16:17], s[14:15], s[6:7]
	v_cndmask_b32_e64 v33, v6, v7, s[16:17]
	v_mfma_f32_16x16x128_f8f6f4 a[108:111], v[126:133], v[86:93], a[108:111]
	v_add_u32_e32 v33, v32, v33
	s_and_b64 s[16:17], s[14:15], s[8:9]
	s_waitcnt lgkmcnt(0)
	buffer_store_dwordx2 v[34:35], v33, s[28:31], 0 offen
	v_cndmask_b32_e64 v33, v8, v9, s[16:17]
	v_add_u32_e32 v33, v32, v33
	buffer_store_dwordx2 v[36:37], v33, s[28:31], 0 offen
	v_accvgpr_read_b32 v33, a112
	v_cvt_f16_f32_e32 v33, v33
	v_accvgpr_read_b32 v34, a113
	v_cvt_f16_f32_e32 v34, v34
	;; [unrolled: 2-line block ×4, first 2 shown]
	s_waitcnt lgkmcnt(0)
	s_barrier
	ds_write_b16 v1, v33
	ds_write_b16 v1, v34 offset:128
	ds_write_b16 v1, v35 offset:256
	;; [unrolled: 1-line block ×3, first 2 shown]
	v_accvgpr_read_b32 v33, a111
	v_cvt_f16_f32_e32 v33, v33
	v_accvgpr_read_b32 v34, a110
	v_cvt_f16_f32_e32 v34, v34
	;; [unrolled: 2-line block ×3, first 2 shown]
	v_accvgpr_read_b32 v36, a108
	v_mfma_f32_16x16x128_f8f6f4 a[120:123], v[126:133], v[110:117], a[120:123]
	v_cvt_f16_f32_e32 v36, v36
	ds_write_b16 v1, v33 offset:448
	ds_write_b16 v1, v34 offset:320
	;; [unrolled: 1-line block ×4, first 2 shown]
	s_waitcnt lgkmcnt(0)
	s_barrier
	ds_read_b128 v[34:37], v2
	s_and_b64 s[16:17], s[14:15], s[2:3]
	v_cndmask_b32_e64 v33, v10, v11, s[16:17]
	v_mfma_f32_16x16x128_f8f6f4 a[116:119], v[126:133], v[102:109], a[116:119]
	v_add_u32_e32 v33, v32, v33
	s_and_b64 s[16:17], s[14:15], s[4:5]
	s_waitcnt lgkmcnt(0)
	buffer_store_dwordx2 v[34:35], v33, s[28:31], 0 offen
	v_cndmask_b32_e64 v33, v12, v13, s[16:17]
	v_add_u32_e32 v32, v32, v33
	buffer_store_dwordx2 v[36:37], v32, s[28:31], 0 offen
	v_accvgpr_read_b32 v32, a120
	v_cvt_f16_f32_e32 v32, v32
	v_accvgpr_read_b32 v33, a121
	v_cvt_f16_f32_e32 v33, v33
	;; [unrolled: 2-line block ×4, first 2 shown]
	s_waitcnt lgkmcnt(0)
	s_barrier
	ds_write_b16 v1, v32
	ds_write_b16 v1, v33 offset:128
	ds_write_b16 v1, v34 offset:256
	;; [unrolled: 1-line block ×3, first 2 shown]
	v_accvgpr_read_b32 v32, a119
	v_cvt_f16_f32_e32 v32, v32
	v_accvgpr_read_b32 v33, a118
	v_cvt_f16_f32_e32 v33, v33
	v_accvgpr_read_b32 v34, a117
	v_mfma_f32_16x16x128_f8f6f4 a[92:95], v[118:125], v[110:117], a[84:87]
	v_cvt_f16_f32_e32 v34, v34
	v_accvgpr_read_b32 v35, a116
	v_cvt_f16_f32_e32 v35, v35
	ds_write_b16 v1, v32 offset:448
	ds_write_b16 v1, v33 offset:320
	;; [unrolled: 1-line block ×4, first 2 shown]
	s_waitcnt lgkmcnt(0)
	s_barrier
	ds_read_b128 v[34:37], v2
	v_add_u32_e32 v23, s18, v23
	s_and_b64 s[16:17], vcc, s[14:15]
	v_mfma_f32_16x16x128_f8f6f4 a[88:91], v[118:125], v[102:109], a[80:83]
	v_lshlrev_b32_e32 v32, 1, v23
	v_cndmask_b32_e64 v33, v4, 0, s[16:17]
	v_add_u32_e32 v33, v32, v33
	s_and_b64 s[14:15], s[14:15], s[0:1]
	s_waitcnt lgkmcnt(0)
	buffer_store_dwordx2 v[34:35], v33, s[28:31], 0 offen
	v_cndmask_b32_e64 v33, v5, 8, s[14:15]
	v_add_u32_e32 v32, v32, v33
	v_accvgpr_read_b32 v33, a92
	v_cvt_f16_f32_e32 v33, v33
	v_accvgpr_read_b32 v34, a93
	v_cvt_f16_f32_e32 v34, v34
	v_accvgpr_read_b32 v35, a94
	buffer_store_dwordx2 v[36:37], v32, s[28:31], 0 offen
	v_cvt_f16_f32_e32 v35, v35
	v_accvgpr_read_b32 v36, a95
	v_cvt_f16_f32_e32 v36, v36
	s_waitcnt lgkmcnt(0)
	s_barrier
	ds_write_b16 v1, v33
	ds_write_b16 v1, v34 offset:128
	ds_write_b16 v1, v35 offset:256
	;; [unrolled: 1-line block ×3, first 2 shown]
	v_accvgpr_read_b32 v33, a91
	v_cvt_f16_f32_e32 v33, v33
	v_accvgpr_read_b32 v34, a90
	v_cvt_f16_f32_e32 v34, v34
	;; [unrolled: 2-line block ×3, first 2 shown]
	v_accvgpr_read_b32 v36, a88
	v_mfma_f32_16x16x128_f8f6f4 a[84:87], v[118:125], v[94:101], a[96:99]
	v_cvt_f16_f32_e32 v36, v36
	v_add_u32_e32 v32, 0x80, v3
	ds_write_b16 v1, v33 offset:448
	ds_write_b16 v1, v34 offset:320
	;; [unrolled: 1-line block ×4, first 2 shown]
	s_waitcnt lgkmcnt(0)
	s_barrier
	ds_read_b128 v[34:37], v2
	v_cmp_gt_i32_e64 s[14:15], s20, v32
	v_add_u32_e32 v23, s18, v23
	s_and_b64 s[16:17], vcc, s[14:15]
	v_lshlrev_b32_e32 v32, 1, v23
	v_cndmask_b32_e64 v33, v4, 0, s[16:17]
	v_mfma_f32_16x16x128_f8f6f4 a[80:83], v[118:125], v[86:93], a[128:131]
	v_add_u32_e32 v33, v32, v33
	s_and_b64 s[16:17], s[14:15], s[0:1]
	s_waitcnt lgkmcnt(0)
	buffer_store_dwordx2 v[34:35], v33, s[28:31], 0 offen
	v_cndmask_b32_e64 v33, v5, 8, s[16:17]
	v_add_u32_e32 v33, v32, v33
	buffer_store_dwordx2 v[36:37], v33, s[28:31], 0 offen
	v_accvgpr_read_b32 v33, a84
	v_cvt_f16_f32_e32 v33, v33
	v_accvgpr_read_b32 v34, a85
	v_cvt_f16_f32_e32 v34, v34
	;; [unrolled: 2-line block ×4, first 2 shown]
	s_waitcnt lgkmcnt(0)
	s_barrier
	ds_write_b16 v1, v33
	ds_write_b16 v1, v34 offset:128
	ds_write_b16 v1, v35 offset:256
	;; [unrolled: 1-line block ×3, first 2 shown]
	v_accvgpr_read_b32 v33, a83
	v_cvt_f16_f32_e32 v33, v33
	v_accvgpr_read_b32 v34, a82
	v_cvt_f16_f32_e32 v34, v34
	;; [unrolled: 2-line block ×3, first 2 shown]
	v_accvgpr_read_b32 v36, a80
	v_mfma_f32_16x16x128_f8f6f4 a[76:79], v[118:125], v[78:85], a[76:79]
	v_cvt_f16_f32_e32 v36, v36
	ds_write_b16 v1, v33 offset:448
	ds_write_b16 v1, v34 offset:320
	;; [unrolled: 1-line block ×4, first 2 shown]
	s_waitcnt lgkmcnt(0)
	s_barrier
	ds_read_b128 v[34:37], v2
	s_and_b64 s[16:17], s[14:15], s[2:3]
	v_cndmask_b32_e64 v33, v0, v14, s[16:17]
	v_mfma_f32_16x16x128_f8f6f4 a[72:75], v[118:125], v[70:77], a[72:75]
	v_add_u32_e32 v33, v32, v33
	s_and_b64 s[16:17], s[14:15], s[4:5]
	s_waitcnt lgkmcnt(0)
	buffer_store_dwordx2 v[34:35], v33, s[28:31], 0 offen
	v_cndmask_b32_e64 v33, v15, v16, s[16:17]
	v_add_u32_e32 v33, v32, v33
	buffer_store_dwordx2 v[36:37], v33, s[28:31], 0 offen
	v_accvgpr_read_b32 v33, a76
	v_cvt_f16_f32_e32 v33, v33
	v_accvgpr_read_b32 v34, a77
	v_cvt_f16_f32_e32 v34, v34
	;; [unrolled: 2-line block ×4, first 2 shown]
	s_waitcnt lgkmcnt(0)
	s_barrier
	ds_write_b16 v1, v33
	ds_write_b16 v1, v34 offset:128
	ds_write_b16 v1, v35 offset:256
	;; [unrolled: 1-line block ×3, first 2 shown]
	v_accvgpr_read_b32 v33, a75
	v_cvt_f16_f32_e32 v33, v33
	v_accvgpr_read_b32 v34, a74
	v_cvt_f16_f32_e32 v34, v34
	;; [unrolled: 2-line block ×3, first 2 shown]
	v_accvgpr_read_b32 v36, a72
	v_mfma_f32_16x16x128_f8f6f4 a[68:71], v[118:125], v[62:69], a[68:71]
	v_cvt_f16_f32_e32 v36, v36
	ds_write_b16 v1, v33 offset:448
	ds_write_b16 v1, v34 offset:320
	;; [unrolled: 1-line block ×4, first 2 shown]
	s_waitcnt lgkmcnt(0)
	s_barrier
	ds_read_b128 v[34:37], v2
	s_and_b64 s[16:17], s[14:15], s[6:7]
	v_cndmask_b32_e64 v33, v17, v18, s[16:17]
	v_mfma_f32_16x16x128_f8f6f4 a[64:67], v[118:125], v[24:31], a[64:67]
	v_add_u32_e32 v33, v32, v33
	s_and_b64 s[16:17], s[14:15], s[8:9]
	s_waitcnt lgkmcnt(0)
	buffer_store_dwordx2 v[34:35], v33, s[28:31], 0 offen
	v_cndmask_b32_e64 v33, v19, v20, s[16:17]
	v_add_u32_e32 v33, v32, v33
	buffer_store_dwordx2 v[36:37], v33, s[28:31], 0 offen
	v_accvgpr_read_b32 v33, a68
	v_cvt_f16_f32_e32 v33, v33
	v_accvgpr_read_b32 v34, a69
	v_cvt_f16_f32_e32 v34, v34
	;; [unrolled: 2-line block ×4, first 2 shown]
	s_waitcnt lgkmcnt(0)
	s_barrier
	ds_write_b16 v1, v33
	ds_write_b16 v1, v34 offset:128
	ds_write_b16 v1, v35 offset:256
	;; [unrolled: 1-line block ×3, first 2 shown]
	v_accvgpr_read_b32 v33, a67
	v_cvt_f16_f32_e32 v33, v33
	v_accvgpr_read_b32 v34, a66
	v_cvt_f16_f32_e32 v34, v34
	v_accvgpr_read_b32 v35, a65
	v_mfma_f32_16x16x128_f8f6f4 a[36:39], v[142:149], v[62:69], a[36:39]
	v_cvt_f16_f32_e32 v35, v35
	v_accvgpr_read_b32 v36, a64
	v_cvt_f16_f32_e32 v36, v36
	ds_write_b16 v1, v33 offset:448
	ds_write_b16 v1, v34 offset:320
	;; [unrolled: 1-line block ×4, first 2 shown]
	s_waitcnt lgkmcnt(0)
	s_barrier
	ds_read_b128 v[36:39], v2
	s_and_b64 s[16:17], s[14:15], s[10:11]
	v_mfma_f32_16x16x128_f8f6f4 a[32:35], v[142:149], v[24:31], a[32:35]
	v_add_u32_e32 v33, 0xc0, v23
	v_cndmask_b32_e64 v34, v4, 0, s[16:17]
	v_lshl_add_u32 v34, v33, 1, v34
	s_and_b64 s[14:15], s[14:15], s[12:13]
	s_waitcnt lgkmcnt(0)
	buffer_store_dwordx2 v[36:37], v34, s[28:31], 0 offen
	v_cndmask_b32_e64 v34, v21, v22, s[14:15]
	v_add_u32_e32 v32, v32, v34
	v_accvgpr_read_b32 v34, a36
	v_cvt_f16_f32_e32 v34, v34
	v_accvgpr_read_b32 v35, a37
	v_cvt_f16_f32_e32 v35, v35
	;; [unrolled: 2-line block ×4, first 2 shown]
	buffer_store_dwordx2 v[38:39], v32, s[28:31], 0 offen
	s_waitcnt lgkmcnt(0)
	s_barrier
	ds_write_b16 v1, v34
	ds_write_b16 v1, v35 offset:128
	ds_write_b16 v1, v36 offset:256
	;; [unrolled: 1-line block ×3, first 2 shown]
	v_accvgpr_read_b32 v34, a35
	v_cvt_f16_f32_e32 v34, v34
	v_accvgpr_read_b32 v35, a34
	v_cvt_f16_f32_e32 v35, v35
	;; [unrolled: 2-line block ×3, first 2 shown]
	v_accvgpr_read_b32 v37, a32
	v_mfma_f32_16x16x128_f8f6f4 a[44:47], v[142:149], v[78:85], a[44:47]
	v_cvt_f16_f32_e32 v37, v37
	v_add_u32_e32 v32, 0xa0, v3
	ds_write_b16 v1, v34 offset:448
	ds_write_b16 v1, v35 offset:320
	ds_write_b16 v1, v36 offset:192
	ds_write_b16 v1, v37 offset:64
	s_waitcnt lgkmcnt(0)
	s_barrier
	ds_read_b128 v[34:37], v2
	v_cmp_gt_i32_e64 s[14:15], s20, v32
	s_and_b64 s[16:17], s[14:15], s[10:11]
	v_add_lshl_u32 v32, v33, s18, 1
	v_cndmask_b32_e64 v33, v4, 0, s[16:17]
	v_mfma_f32_16x16x128_f8f6f4 a[40:43], v[142:149], v[70:77], a[40:43]
	v_add_u32_e32 v33, v32, v33
	s_and_b64 s[16:17], s[14:15], s[12:13]
	s_waitcnt lgkmcnt(0)
	buffer_store_dwordx2 v[34:35], v33, s[28:31], 0 offen
	v_cndmask_b32_e64 v33, v5, 8, s[16:17]
	v_add_u32_e32 v33, v32, v33
	buffer_store_dwordx2 v[36:37], v33, s[28:31], 0 offen
	v_accvgpr_read_b32 v33, a44
	v_cvt_f16_f32_e32 v33, v33
	v_accvgpr_read_b32 v34, a45
	v_cvt_f16_f32_e32 v34, v34
	;; [unrolled: 2-line block ×4, first 2 shown]
	s_waitcnt lgkmcnt(0)
	s_barrier
	ds_write_b16 v1, v33
	ds_write_b16 v1, v34 offset:128
	ds_write_b16 v1, v35 offset:256
	;; [unrolled: 1-line block ×3, first 2 shown]
	v_accvgpr_read_b32 v33, a43
	v_cvt_f16_f32_e32 v33, v33
	v_accvgpr_read_b32 v34, a42
	v_cvt_f16_f32_e32 v34, v34
	;; [unrolled: 2-line block ×3, first 2 shown]
	v_accvgpr_read_b32 v36, a40
	v_mfma_f32_16x16x128_f8f6f4 a[52:55], v[142:149], v[94:101], a[52:55]
	v_cvt_f16_f32_e32 v36, v36
	ds_write_b16 v1, v33 offset:448
	ds_write_b16 v1, v34 offset:320
	;; [unrolled: 1-line block ×4, first 2 shown]
	s_waitcnt lgkmcnt(0)
	s_barrier
	ds_read_b128 v[34:37], v2
	s_and_b64 s[16:17], s[14:15], s[6:7]
	v_cndmask_b32_e64 v6, v6, v7, s[16:17]
	v_mfma_f32_16x16x128_f8f6f4 a[48:51], v[142:149], v[86:93], a[48:51]
	v_add_u32_e32 v6, v32, v6
	s_and_b64 s[16:17], s[14:15], s[8:9]
	s_waitcnt lgkmcnt(0)
	buffer_store_dwordx2 v[34:35], v6, s[28:31], 0 offen
	v_cndmask_b32_e64 v6, v8, v9, s[16:17]
	v_add_u32_e32 v6, v32, v6
	buffer_store_dwordx2 v[36:37], v6, s[28:31], 0 offen
	v_accvgpr_read_b32 v6, a52
	v_cvt_f16_f32_e32 v6, v6
	v_accvgpr_read_b32 v7, a53
	v_cvt_f16_f32_e32 v7, v7
	v_accvgpr_read_b32 v8, a54
	v_cvt_f16_f32_e32 v8, v8
	v_accvgpr_read_b32 v9, a55
	v_cvt_f16_f32_e32 v9, v9
	s_waitcnt lgkmcnt(0)
	s_barrier
	ds_write_b16 v1, v6
	ds_write_b16 v1, v7 offset:128
	ds_write_b16 v1, v8 offset:256
	;; [unrolled: 1-line block ×3, first 2 shown]
	v_accvgpr_read_b32 v6, a51
	v_cvt_f16_f32_e32 v6, v6
	v_accvgpr_read_b32 v7, a50
	v_cvt_f16_f32_e32 v7, v7
	;; [unrolled: 2-line block ×3, first 2 shown]
	v_accvgpr_read_b32 v9, a48
	v_mfma_f32_16x16x128_f8f6f4 a[60:63], v[142:149], v[110:117], a[60:63]
	v_cvt_f16_f32_e32 v9, v9
	ds_write_b16 v1, v6 offset:448
	ds_write_b16 v1, v7 offset:320
	;; [unrolled: 1-line block ×4, first 2 shown]
	s_waitcnt lgkmcnt(0)
	s_barrier
	ds_read_b128 v[34:37], v2
	s_and_b64 s[16:17], s[14:15], s[2:3]
	v_cndmask_b32_e64 v6, v10, v11, s[16:17]
	v_mfma_f32_16x16x128_f8f6f4 a[56:59], v[142:149], v[102:109], a[56:59]
	v_add_u32_e32 v6, v32, v6
	s_and_b64 s[16:17], s[14:15], s[4:5]
	s_waitcnt lgkmcnt(0)
	buffer_store_dwordx2 v[34:35], v6, s[28:31], 0 offen
	v_cndmask_b32_e64 v6, v12, v13, s[16:17]
	v_add_u32_e32 v6, v32, v6
	buffer_store_dwordx2 v[36:37], v6, s[28:31], 0 offen
	v_accvgpr_read_b32 v6, a60
	v_cvt_f16_f32_e32 v6, v6
	v_accvgpr_read_b32 v7, a61
	v_cvt_f16_f32_e32 v7, v7
	;; [unrolled: 2-line block ×4, first 2 shown]
	s_waitcnt lgkmcnt(0)
	s_barrier
	ds_write_b16 v1, v6
	ds_write_b16 v1, v7 offset:128
	ds_write_b16 v1, v8 offset:256
	;; [unrolled: 1-line block ×3, first 2 shown]
	v_accvgpr_read_b32 v6, a59
	v_cvt_f16_f32_e32 v6, v6
	v_accvgpr_read_b32 v7, a58
	v_cvt_f16_f32_e32 v7, v7
	;; [unrolled: 2-line block ×3, first 2 shown]
	v_accvgpr_read_b32 v9, a56
	v_mfma_f32_16x16x128_f8f6f4 a[28:31], v[54:61], v[110:117], a[28:31]
	v_cvt_f16_f32_e32 v9, v9
	ds_write_b16 v1, v6 offset:448
	ds_write_b16 v1, v7 offset:320
	;; [unrolled: 1-line block ×4, first 2 shown]
	s_waitcnt lgkmcnt(0)
	s_barrier
	ds_read_b128 v[8:11], v2
	s_and_b64 s[16:17], vcc, s[14:15]
	v_add_lshl_u32 v6, v23, s18, 1
	v_cndmask_b32_e64 v7, v4, 0, s[16:17]
	v_mfma_f32_16x16x128_f8f6f4 a[24:27], v[54:61], v[102:109], a[24:27]
	v_add_u32_e32 v7, v6, v7
	s_and_b64 s[14:15], s[14:15], s[0:1]
	s_waitcnt lgkmcnt(0)
	buffer_store_dwordx2 v[8:9], v7, s[28:31], 0 offen
	v_cndmask_b32_e64 v7, v5, 8, s[14:15]
	v_add_u32_e32 v7, v6, v7
	buffer_store_dwordx2 v[10:11], v7, s[28:31], 0 offen
	v_accvgpr_read_b32 v7, a28
	v_cvt_f16_f32_e32 v7, v7
	v_accvgpr_read_b32 v8, a29
	v_cvt_f16_f32_e32 v8, v8
	;; [unrolled: 2-line block ×4, first 2 shown]
	s_waitcnt lgkmcnt(0)
	s_barrier
	ds_write_b16 v1, v7
	ds_write_b16 v1, v8 offset:128
	ds_write_b16 v1, v9 offset:256
	;; [unrolled: 1-line block ×3, first 2 shown]
	v_accvgpr_read_b32 v7, a27
	v_cvt_f16_f32_e32 v7, v7
	v_accvgpr_read_b32 v8, a26
	v_cvt_f16_f32_e32 v8, v8
	;; [unrolled: 2-line block ×3, first 2 shown]
	v_accvgpr_read_b32 v10, a24
	v_mfma_f32_16x16x128_f8f6f4 a[20:23], v[54:61], v[94:101], a[20:23]
	v_cvt_f16_f32_e32 v10, v10
	v_add_u32_e32 v3, 0xc0, v3
	ds_write_b16 v1, v7 offset:448
	ds_write_b16 v1, v8 offset:320
	ds_write_b16 v1, v9 offset:192
	ds_write_b16 v1, v10 offset:64
	s_waitcnt lgkmcnt(0)
	s_barrier
	ds_read_b128 v[8:11], v2
	v_cmp_gt_i32_e64 s[14:15], s20, v3
	s_and_b64 s[16:17], vcc, s[14:15]
	v_lshl_add_u32 v3, s25, 6, v6
	v_cndmask_b32_e64 v4, v4, 0, s[16:17]
	v_mfma_f32_16x16x128_f8f6f4 a[16:19], v[54:61], v[86:93], a[16:19]
	v_add_u32_e32 v4, v3, v4
	s_and_b64 s[0:1], s[14:15], s[0:1]
	s_waitcnt lgkmcnt(0)
	buffer_store_dwordx2 v[8:9], v4, s[28:31], 0 offen
	v_cndmask_b32_e64 v4, v5, 8, s[0:1]
	v_add_u32_e32 v4, v3, v4
	buffer_store_dwordx2 v[10:11], v4, s[28:31], 0 offen
	v_accvgpr_read_b32 v4, a20
	v_cvt_f16_f32_e32 v4, v4
	v_accvgpr_read_b32 v5, a21
	v_cvt_f16_f32_e32 v5, v5
	;; [unrolled: 2-line block ×4, first 2 shown]
	s_waitcnt lgkmcnt(0)
	s_barrier
	ds_write_b16 v1, v4
	ds_write_b16 v1, v5 offset:128
	ds_write_b16 v1, v6 offset:256
	ds_write_b16 v1, v7 offset:384
	v_accvgpr_read_b32 v4, a19
	v_cvt_f16_f32_e32 v4, v4
	v_accvgpr_read_b32 v5, a18
	v_cvt_f16_f32_e32 v5, v5
	;; [unrolled: 2-line block ×3, first 2 shown]
	v_accvgpr_read_b32 v7, a16
	v_mfma_f32_16x16x128_f8f6f4 a[12:15], v[54:61], v[78:85], a[12:15]
	v_cvt_f16_f32_e32 v7, v7
	ds_write_b16 v1, v4 offset:448
	ds_write_b16 v1, v5 offset:320
	;; [unrolled: 1-line block ×4, first 2 shown]
	s_waitcnt lgkmcnt(0)
	s_barrier
	ds_read_b128 v[4:7], v2
	s_and_b64 vcc, s[14:15], s[2:3]
	v_cndmask_b32_e32 v0, v0, v14, vcc
	v_mfma_f32_16x16x128_f8f6f4 a[8:11], v[54:61], v[70:77], a[8:11]
	v_add_u32_e32 v0, v3, v0
	s_and_b64 vcc, s[14:15], s[4:5]
	s_waitcnt lgkmcnt(0)
	buffer_store_dwordx2 v[4:5], v0, s[28:31], 0 offen
	v_cndmask_b32_e32 v0, v15, v16, vcc
	v_add_u32_e32 v0, v3, v0
	buffer_store_dwordx2 v[6:7], v0, s[28:31], 0 offen
	v_accvgpr_read_b32 v0, a12
	v_cvt_f16_f32_e32 v0, v0
	v_accvgpr_read_b32 v4, a13
	v_cvt_f16_f32_e32 v4, v4
	;; [unrolled: 2-line block ×4, first 2 shown]
	s_waitcnt lgkmcnt(0)
	s_barrier
	ds_write_b16 v1, v0
	ds_write_b16 v1, v4 offset:128
	ds_write_b16 v1, v5 offset:256
	ds_write_b16 v1, v6 offset:384
	v_accvgpr_read_b32 v0, a11
	v_cvt_f16_f32_e32 v0, v0
	v_accvgpr_read_b32 v4, a10
	v_cvt_f16_f32_e32 v4, v4
	;; [unrolled: 2-line block ×3, first 2 shown]
	v_accvgpr_read_b32 v6, a8
	v_mfma_f32_16x16x128_f8f6f4 a[4:7], v[54:61], v[62:69], a[4:7]
	v_cvt_f16_f32_e32 v6, v6
	ds_write_b16 v1, v0 offset:448
	ds_write_b16 v1, v4 offset:320
	;; [unrolled: 1-line block ×4, first 2 shown]
	s_waitcnt lgkmcnt(0)
	s_barrier
	ds_read_b128 v[4:7], v2
	s_and_b64 vcc, s[14:15], s[6:7]
	v_cndmask_b32_e32 v0, v17, v18, vcc
	v_mfma_f32_16x16x128_f8f6f4 a[0:3], v[54:61], v[24:31], a[0:3]
	v_add_u32_e32 v0, v3, v0
	s_and_b64 vcc, s[14:15], s[8:9]
	s_waitcnt lgkmcnt(0)
	buffer_store_dwordx2 v[4:5], v0, s[28:31], 0 offen
	v_cndmask_b32_e32 v0, v19, v20, vcc
	v_add_u32_e32 v0, v3, v0
	buffer_store_dwordx2 v[6:7], v0, s[28:31], 0 offen
	v_accvgpr_read_b32 v0, a4
	v_cvt_f16_f32_e32 v0, v0
	v_accvgpr_read_b32 v4, a5
	v_cvt_f16_f32_e32 v4, v4
	;; [unrolled: 2-line block ×4, first 2 shown]
	s_waitcnt lgkmcnt(0)
	s_barrier
	ds_write_b16 v1, v0
	ds_write_b16 v1, v4 offset:128
	ds_write_b16 v1, v5 offset:256
	;; [unrolled: 1-line block ×3, first 2 shown]
	v_accvgpr_read_b32 v0, a3
	v_cvt_f16_f32_e32 v0, v0
	v_accvgpr_read_b32 v4, a2
	v_cvt_f16_f32_e32 v4, v4
	v_accvgpr_read_b32 v5, a1
	v_cvt_f16_f32_e32 v5, v5
	v_accvgpr_read_b32 v6, a0
	v_cvt_f16_f32_e32 v6, v6
	ds_write_b16 v1, v0 offset:448
	ds_write_b16 v1, v4 offset:320
	;; [unrolled: 1-line block ×4, first 2 shown]
	s_waitcnt lgkmcnt(0)
	s_barrier
	ds_read_b128 v[4:7], v2
	v_mov_b32_e32 v0, 0x80000180
	v_mov_b32_e32 v1, 0x180
	s_and_b64 vcc, s[14:15], s[10:11]
	v_cndmask_b32_e32 v0, v0, v1, vcc
	v_add_u32_e32 v0, v3, v0
	s_and_b64 vcc, s[14:15], s[12:13]
	s_waitcnt lgkmcnt(0)
	buffer_store_dwordx2 v[4:5], v0, s[28:31], 0 offen
	v_cndmask_b32_e32 v0, v21, v22, vcc
	v_add_u32_e32 v0, v3, v0
	buffer_store_dwordx2 v[6:7], v0, s[28:31], 0 offen
	s_endpgm
	.section	.rodata,"a",@progbits
	.p2align	6, 0x0
	.amdhsa_kernel _ZN2ck27kernel_gemm_xdl_cshuffle_v3INS_28GridwiseGemm_xdl_cshuffle_v3INS_13tensor_layout4gemm8RowMajorENS3_11ColumnMajorES4_NS_9f8_fnuz_tES6_fDF16_DF16_NS_16tensor_operation12element_wise11PassThroughES9_S9_LNS7_6device18GemmSpecializationE0ELi256ELi224ELi256ELi128ELi16ELi16ELi16ELi16ELi7ELi8ENS_8SequenceIJLi8ELi32ELi1EEEENSC_IJLi1ELi0ELi2EEEESE_Li2ELi16ELi16ELb0ELi0ESD_SE_SE_Li2ELi16ELi16ELb0ELi0ELi1ELi2ENSC_IJLi1ELi32ELi1ELi8EEEELi4ELNS_26BlockGemmPipelineSchedulerE0ELNS_24BlockGemmPipelineVersionE2ES6_S6_Lb0ELb0ELb0ELi0ELb0EEELb1ELNS_25InMemoryDataOperationEnumE0ELi1ELNS_10TailNumberE10EEEvNT_8ArgumentE
		.amdhsa_group_segment_fixed_size 61440
		.amdhsa_private_segment_fixed_size 0
		.amdhsa_kernarg_size 112
		.amdhsa_user_sgpr_count 2
		.amdhsa_user_sgpr_dispatch_ptr 0
		.amdhsa_user_sgpr_queue_ptr 0
		.amdhsa_user_sgpr_kernarg_segment_ptr 1
		.amdhsa_user_sgpr_dispatch_id 0
		.amdhsa_user_sgpr_kernarg_preload_length 0
		.amdhsa_user_sgpr_kernarg_preload_offset 0
		.amdhsa_user_sgpr_private_segment_size 0
		.amdhsa_uses_dynamic_stack 0
		.amdhsa_enable_private_segment 0
		.amdhsa_system_sgpr_workgroup_id_x 1
		.amdhsa_system_sgpr_workgroup_id_y 0
		.amdhsa_system_sgpr_workgroup_id_z 1
		.amdhsa_system_sgpr_workgroup_info 0
		.amdhsa_system_vgpr_workitem_id 0
		.amdhsa_next_free_vgpr 456
		.amdhsa_next_free_sgpr 96
		.amdhsa_accum_offset 232
		.amdhsa_reserve_vcc 1
		.amdhsa_float_round_mode_32 0
		.amdhsa_float_round_mode_16_64 0
		.amdhsa_float_denorm_mode_32 3
		.amdhsa_float_denorm_mode_16_64 3
		.amdhsa_dx10_clamp 1
		.amdhsa_ieee_mode 1
		.amdhsa_fp16_overflow 0
		.amdhsa_tg_split 0
		.amdhsa_exception_fp_ieee_invalid_op 0
		.amdhsa_exception_fp_denorm_src 0
		.amdhsa_exception_fp_ieee_div_zero 0
		.amdhsa_exception_fp_ieee_overflow 0
		.amdhsa_exception_fp_ieee_underflow 0
		.amdhsa_exception_fp_ieee_inexact 0
		.amdhsa_exception_int_div_zero 0
	.end_amdhsa_kernel
	.section	.text._ZN2ck27kernel_gemm_xdl_cshuffle_v3INS_28GridwiseGemm_xdl_cshuffle_v3INS_13tensor_layout4gemm8RowMajorENS3_11ColumnMajorES4_NS_9f8_fnuz_tES6_fDF16_DF16_NS_16tensor_operation12element_wise11PassThroughES9_S9_LNS7_6device18GemmSpecializationE0ELi256ELi224ELi256ELi128ELi16ELi16ELi16ELi16ELi7ELi8ENS_8SequenceIJLi8ELi32ELi1EEEENSC_IJLi1ELi0ELi2EEEESE_Li2ELi16ELi16ELb0ELi0ESD_SE_SE_Li2ELi16ELi16ELb0ELi0ELi1ELi2ENSC_IJLi1ELi32ELi1ELi8EEEELi4ELNS_26BlockGemmPipelineSchedulerE0ELNS_24BlockGemmPipelineVersionE2ES6_S6_Lb0ELb0ELb0ELi0ELb0EEELb1ELNS_25InMemoryDataOperationEnumE0ELi1ELNS_10TailNumberE10EEEvNT_8ArgumentE,"axG",@progbits,_ZN2ck27kernel_gemm_xdl_cshuffle_v3INS_28GridwiseGemm_xdl_cshuffle_v3INS_13tensor_layout4gemm8RowMajorENS3_11ColumnMajorES4_NS_9f8_fnuz_tES6_fDF16_DF16_NS_16tensor_operation12element_wise11PassThroughES9_S9_LNS7_6device18GemmSpecializationE0ELi256ELi224ELi256ELi128ELi16ELi16ELi16ELi16ELi7ELi8ENS_8SequenceIJLi8ELi32ELi1EEEENSC_IJLi1ELi0ELi2EEEESE_Li2ELi16ELi16ELb0ELi0ESD_SE_SE_Li2ELi16ELi16ELb0ELi0ELi1ELi2ENSC_IJLi1ELi32ELi1ELi8EEEELi4ELNS_26BlockGemmPipelineSchedulerE0ELNS_24BlockGemmPipelineVersionE2ES6_S6_Lb0ELb0ELb0ELi0ELb0EEELb1ELNS_25InMemoryDataOperationEnumE0ELi1ELNS_10TailNumberE10EEEvNT_8ArgumentE,comdat
.Lfunc_end2:
	.size	_ZN2ck27kernel_gemm_xdl_cshuffle_v3INS_28GridwiseGemm_xdl_cshuffle_v3INS_13tensor_layout4gemm8RowMajorENS3_11ColumnMajorES4_NS_9f8_fnuz_tES6_fDF16_DF16_NS_16tensor_operation12element_wise11PassThroughES9_S9_LNS7_6device18GemmSpecializationE0ELi256ELi224ELi256ELi128ELi16ELi16ELi16ELi16ELi7ELi8ENS_8SequenceIJLi8ELi32ELi1EEEENSC_IJLi1ELi0ELi2EEEESE_Li2ELi16ELi16ELb0ELi0ESD_SE_SE_Li2ELi16ELi16ELb0ELi0ELi1ELi2ENSC_IJLi1ELi32ELi1ELi8EEEELi4ELNS_26BlockGemmPipelineSchedulerE0ELNS_24BlockGemmPipelineVersionE2ES6_S6_Lb0ELb0ELb0ELi0ELb0EEELb1ELNS_25InMemoryDataOperationEnumE0ELi1ELNS_10TailNumberE10EEEvNT_8ArgumentE, .Lfunc_end2-_ZN2ck27kernel_gemm_xdl_cshuffle_v3INS_28GridwiseGemm_xdl_cshuffle_v3INS_13tensor_layout4gemm8RowMajorENS3_11ColumnMajorES4_NS_9f8_fnuz_tES6_fDF16_DF16_NS_16tensor_operation12element_wise11PassThroughES9_S9_LNS7_6device18GemmSpecializationE0ELi256ELi224ELi256ELi128ELi16ELi16ELi16ELi16ELi7ELi8ENS_8SequenceIJLi8ELi32ELi1EEEENSC_IJLi1ELi0ELi2EEEESE_Li2ELi16ELi16ELb0ELi0ESD_SE_SE_Li2ELi16ELi16ELb0ELi0ELi1ELi2ENSC_IJLi1ELi32ELi1ELi8EEEELi4ELNS_26BlockGemmPipelineSchedulerE0ELNS_24BlockGemmPipelineVersionE2ES6_S6_Lb0ELb0ELb0ELi0ELb0EEELb1ELNS_25InMemoryDataOperationEnumE0ELi1ELNS_10TailNumberE10EEEvNT_8ArgumentE
                                        ; -- End function
	.set _ZN2ck27kernel_gemm_xdl_cshuffle_v3INS_28GridwiseGemm_xdl_cshuffle_v3INS_13tensor_layout4gemm8RowMajorENS3_11ColumnMajorES4_NS_9f8_fnuz_tES6_fDF16_DF16_NS_16tensor_operation12element_wise11PassThroughES9_S9_LNS7_6device18GemmSpecializationE0ELi256ELi224ELi256ELi128ELi16ELi16ELi16ELi16ELi7ELi8ENS_8SequenceIJLi8ELi32ELi1EEEENSC_IJLi1ELi0ELi2EEEESE_Li2ELi16ELi16ELb0ELi0ESD_SE_SE_Li2ELi16ELi16ELb0ELi0ELi1ELi2ENSC_IJLi1ELi32ELi1ELi8EEEELi4ELNS_26BlockGemmPipelineSchedulerE0ELNS_24BlockGemmPipelineVersionE2ES6_S6_Lb0ELb0ELb0ELi0ELb0EEELb1ELNS_25InMemoryDataOperationEnumE0ELi1ELNS_10TailNumberE10EEEvNT_8ArgumentE.num_vgpr, 230
	.set _ZN2ck27kernel_gemm_xdl_cshuffle_v3INS_28GridwiseGemm_xdl_cshuffle_v3INS_13tensor_layout4gemm8RowMajorENS3_11ColumnMajorES4_NS_9f8_fnuz_tES6_fDF16_DF16_NS_16tensor_operation12element_wise11PassThroughES9_S9_LNS7_6device18GemmSpecializationE0ELi256ELi224ELi256ELi128ELi16ELi16ELi16ELi16ELi7ELi8ENS_8SequenceIJLi8ELi32ELi1EEEENSC_IJLi1ELi0ELi2EEEESE_Li2ELi16ELi16ELb0ELi0ESD_SE_SE_Li2ELi16ELi16ELb0ELi0ELi1ELi2ENSC_IJLi1ELi32ELi1ELi8EEEELi4ELNS_26BlockGemmPipelineSchedulerE0ELNS_24BlockGemmPipelineVersionE2ES6_S6_Lb0ELb0ELb0ELi0ELb0EEELb1ELNS_25InMemoryDataOperationEnumE0ELi1ELNS_10TailNumberE10EEEvNT_8ArgumentE.num_agpr, 224
	.set _ZN2ck27kernel_gemm_xdl_cshuffle_v3INS_28GridwiseGemm_xdl_cshuffle_v3INS_13tensor_layout4gemm8RowMajorENS3_11ColumnMajorES4_NS_9f8_fnuz_tES6_fDF16_DF16_NS_16tensor_operation12element_wise11PassThroughES9_S9_LNS7_6device18GemmSpecializationE0ELi256ELi224ELi256ELi128ELi16ELi16ELi16ELi16ELi7ELi8ENS_8SequenceIJLi8ELi32ELi1EEEENSC_IJLi1ELi0ELi2EEEESE_Li2ELi16ELi16ELb0ELi0ESD_SE_SE_Li2ELi16ELi16ELb0ELi0ELi1ELi2ENSC_IJLi1ELi32ELi1ELi8EEEELi4ELNS_26BlockGemmPipelineSchedulerE0ELNS_24BlockGemmPipelineVersionE2ES6_S6_Lb0ELb0ELb0ELi0ELb0EEELb1ELNS_25InMemoryDataOperationEnumE0ELi1ELNS_10TailNumberE10EEEvNT_8ArgumentE.numbered_sgpr, 32
	.set _ZN2ck27kernel_gemm_xdl_cshuffle_v3INS_28GridwiseGemm_xdl_cshuffle_v3INS_13tensor_layout4gemm8RowMajorENS3_11ColumnMajorES4_NS_9f8_fnuz_tES6_fDF16_DF16_NS_16tensor_operation12element_wise11PassThroughES9_S9_LNS7_6device18GemmSpecializationE0ELi256ELi224ELi256ELi128ELi16ELi16ELi16ELi16ELi7ELi8ENS_8SequenceIJLi8ELi32ELi1EEEENSC_IJLi1ELi0ELi2EEEESE_Li2ELi16ELi16ELb0ELi0ESD_SE_SE_Li2ELi16ELi16ELb0ELi0ELi1ELi2ENSC_IJLi1ELi32ELi1ELi8EEEELi4ELNS_26BlockGemmPipelineSchedulerE0ELNS_24BlockGemmPipelineVersionE2ES6_S6_Lb0ELb0ELb0ELi0ELb0EEELb1ELNS_25InMemoryDataOperationEnumE0ELi1ELNS_10TailNumberE10EEEvNT_8ArgumentE.num_named_barrier, 0
	.set _ZN2ck27kernel_gemm_xdl_cshuffle_v3INS_28GridwiseGemm_xdl_cshuffle_v3INS_13tensor_layout4gemm8RowMajorENS3_11ColumnMajorES4_NS_9f8_fnuz_tES6_fDF16_DF16_NS_16tensor_operation12element_wise11PassThroughES9_S9_LNS7_6device18GemmSpecializationE0ELi256ELi224ELi256ELi128ELi16ELi16ELi16ELi16ELi7ELi8ENS_8SequenceIJLi8ELi32ELi1EEEENSC_IJLi1ELi0ELi2EEEESE_Li2ELi16ELi16ELb0ELi0ESD_SE_SE_Li2ELi16ELi16ELb0ELi0ELi1ELi2ENSC_IJLi1ELi32ELi1ELi8EEEELi4ELNS_26BlockGemmPipelineSchedulerE0ELNS_24BlockGemmPipelineVersionE2ES6_S6_Lb0ELb0ELb0ELi0ELb0EEELb1ELNS_25InMemoryDataOperationEnumE0ELi1ELNS_10TailNumberE10EEEvNT_8ArgumentE.private_seg_size, 0
	.set _ZN2ck27kernel_gemm_xdl_cshuffle_v3INS_28GridwiseGemm_xdl_cshuffle_v3INS_13tensor_layout4gemm8RowMajorENS3_11ColumnMajorES4_NS_9f8_fnuz_tES6_fDF16_DF16_NS_16tensor_operation12element_wise11PassThroughES9_S9_LNS7_6device18GemmSpecializationE0ELi256ELi224ELi256ELi128ELi16ELi16ELi16ELi16ELi7ELi8ENS_8SequenceIJLi8ELi32ELi1EEEENSC_IJLi1ELi0ELi2EEEESE_Li2ELi16ELi16ELb0ELi0ESD_SE_SE_Li2ELi16ELi16ELb0ELi0ELi1ELi2ENSC_IJLi1ELi32ELi1ELi8EEEELi4ELNS_26BlockGemmPipelineSchedulerE0ELNS_24BlockGemmPipelineVersionE2ES6_S6_Lb0ELb0ELb0ELi0ELb0EEELb1ELNS_25InMemoryDataOperationEnumE0ELi1ELNS_10TailNumberE10EEEvNT_8ArgumentE.uses_vcc, 1
	.set _ZN2ck27kernel_gemm_xdl_cshuffle_v3INS_28GridwiseGemm_xdl_cshuffle_v3INS_13tensor_layout4gemm8RowMajorENS3_11ColumnMajorES4_NS_9f8_fnuz_tES6_fDF16_DF16_NS_16tensor_operation12element_wise11PassThroughES9_S9_LNS7_6device18GemmSpecializationE0ELi256ELi224ELi256ELi128ELi16ELi16ELi16ELi16ELi7ELi8ENS_8SequenceIJLi8ELi32ELi1EEEENSC_IJLi1ELi0ELi2EEEESE_Li2ELi16ELi16ELb0ELi0ESD_SE_SE_Li2ELi16ELi16ELb0ELi0ELi1ELi2ENSC_IJLi1ELi32ELi1ELi8EEEELi4ELNS_26BlockGemmPipelineSchedulerE0ELNS_24BlockGemmPipelineVersionE2ES6_S6_Lb0ELb0ELb0ELi0ELb0EEELb1ELNS_25InMemoryDataOperationEnumE0ELi1ELNS_10TailNumberE10EEEvNT_8ArgumentE.uses_flat_scratch, 0
	.set _ZN2ck27kernel_gemm_xdl_cshuffle_v3INS_28GridwiseGemm_xdl_cshuffle_v3INS_13tensor_layout4gemm8RowMajorENS3_11ColumnMajorES4_NS_9f8_fnuz_tES6_fDF16_DF16_NS_16tensor_operation12element_wise11PassThroughES9_S9_LNS7_6device18GemmSpecializationE0ELi256ELi224ELi256ELi128ELi16ELi16ELi16ELi16ELi7ELi8ENS_8SequenceIJLi8ELi32ELi1EEEENSC_IJLi1ELi0ELi2EEEESE_Li2ELi16ELi16ELb0ELi0ESD_SE_SE_Li2ELi16ELi16ELb0ELi0ELi1ELi2ENSC_IJLi1ELi32ELi1ELi8EEEELi4ELNS_26BlockGemmPipelineSchedulerE0ELNS_24BlockGemmPipelineVersionE2ES6_S6_Lb0ELb0ELb0ELi0ELb0EEELb1ELNS_25InMemoryDataOperationEnumE0ELi1ELNS_10TailNumberE10EEEvNT_8ArgumentE.has_dyn_sized_stack, 0
	.set _ZN2ck27kernel_gemm_xdl_cshuffle_v3INS_28GridwiseGemm_xdl_cshuffle_v3INS_13tensor_layout4gemm8RowMajorENS3_11ColumnMajorES4_NS_9f8_fnuz_tES6_fDF16_DF16_NS_16tensor_operation12element_wise11PassThroughES9_S9_LNS7_6device18GemmSpecializationE0ELi256ELi224ELi256ELi128ELi16ELi16ELi16ELi16ELi7ELi8ENS_8SequenceIJLi8ELi32ELi1EEEENSC_IJLi1ELi0ELi2EEEESE_Li2ELi16ELi16ELb0ELi0ESD_SE_SE_Li2ELi16ELi16ELb0ELi0ELi1ELi2ENSC_IJLi1ELi32ELi1ELi8EEEELi4ELNS_26BlockGemmPipelineSchedulerE0ELNS_24BlockGemmPipelineVersionE2ES6_S6_Lb0ELb0ELb0ELi0ELb0EEELb1ELNS_25InMemoryDataOperationEnumE0ELi1ELNS_10TailNumberE10EEEvNT_8ArgumentE.has_recursion, 0
	.set _ZN2ck27kernel_gemm_xdl_cshuffle_v3INS_28GridwiseGemm_xdl_cshuffle_v3INS_13tensor_layout4gemm8RowMajorENS3_11ColumnMajorES4_NS_9f8_fnuz_tES6_fDF16_DF16_NS_16tensor_operation12element_wise11PassThroughES9_S9_LNS7_6device18GemmSpecializationE0ELi256ELi224ELi256ELi128ELi16ELi16ELi16ELi16ELi7ELi8ENS_8SequenceIJLi8ELi32ELi1EEEENSC_IJLi1ELi0ELi2EEEESE_Li2ELi16ELi16ELb0ELi0ESD_SE_SE_Li2ELi16ELi16ELb0ELi0ELi1ELi2ENSC_IJLi1ELi32ELi1ELi8EEEELi4ELNS_26BlockGemmPipelineSchedulerE0ELNS_24BlockGemmPipelineVersionE2ES6_S6_Lb0ELb0ELb0ELi0ELb0EEELb1ELNS_25InMemoryDataOperationEnumE0ELi1ELNS_10TailNumberE10EEEvNT_8ArgumentE.has_indirect_call, 0
	.section	.AMDGPU.csdata,"",@progbits
; Kernel info:
; codeLenInByte = 14392
; TotalNumSgprs: 38
; NumVgprs: 230
; NumAgprs: 224
; TotalNumVgprs: 456
; ScratchSize: 0
; MemoryBound: 0
; FloatMode: 240
; IeeeMode: 1
; LDSByteSize: 61440 bytes/workgroup (compile time only)
; SGPRBlocks: 12
; VGPRBlocks: 56
; NumSGPRsForWavesPerEU: 102
; NumVGPRsForWavesPerEU: 456
; AccumOffset: 232
; Occupancy: 1
; WaveLimiterHint : 0
; COMPUTE_PGM_RSRC2:SCRATCH_EN: 0
; COMPUTE_PGM_RSRC2:USER_SGPR: 2
; COMPUTE_PGM_RSRC2:TRAP_HANDLER: 0
; COMPUTE_PGM_RSRC2:TGID_X_EN: 1
; COMPUTE_PGM_RSRC2:TGID_Y_EN: 0
; COMPUTE_PGM_RSRC2:TGID_Z_EN: 1
; COMPUTE_PGM_RSRC2:TIDIG_COMP_CNT: 0
; COMPUTE_PGM_RSRC3_GFX90A:ACCUM_OFFSET: 57
; COMPUTE_PGM_RSRC3_GFX90A:TG_SPLIT: 0
	.section	.text._ZN2ck27kernel_gemm_xdl_cshuffle_v3INS_28GridwiseGemm_xdl_cshuffle_v3INS_13tensor_layout4gemm8RowMajorENS3_11ColumnMajorES4_NS_9f8_fnuz_tES6_fDF16_DF16_NS_16tensor_operation12element_wise11PassThroughES9_S9_LNS7_6device18GemmSpecializationE0ELi256ELi224ELi256ELi128ELi16ELi16ELi16ELi16ELi7ELi4ENS_8SequenceIJLi8ELi32ELi1EEEENSC_IJLi1ELi0ELi2EEEESE_Li2ELi16ELi16ELb0ELi0ESD_SE_SE_Li2ELi16ELi16ELb0ELi0ELi1ELi2ENSC_IJLi1ELi32ELi1ELi8EEEELi4ELNS_26BlockGemmPipelineSchedulerE0ELNS_24BlockGemmPipelineVersionE2ES6_S6_Lb0ELb0ELb0ELi0ELb0EEELb1ELNS_25InMemoryDataOperationEnumE1ELi1ELNS_10TailNumberE10EEEvNT_8ArgumentE,"axG",@progbits,_ZN2ck27kernel_gemm_xdl_cshuffle_v3INS_28GridwiseGemm_xdl_cshuffle_v3INS_13tensor_layout4gemm8RowMajorENS3_11ColumnMajorES4_NS_9f8_fnuz_tES6_fDF16_DF16_NS_16tensor_operation12element_wise11PassThroughES9_S9_LNS7_6device18GemmSpecializationE0ELi256ELi224ELi256ELi128ELi16ELi16ELi16ELi16ELi7ELi4ENS_8SequenceIJLi8ELi32ELi1EEEENSC_IJLi1ELi0ELi2EEEESE_Li2ELi16ELi16ELb0ELi0ESD_SE_SE_Li2ELi16ELi16ELb0ELi0ELi1ELi2ENSC_IJLi1ELi32ELi1ELi8EEEELi4ELNS_26BlockGemmPipelineSchedulerE0ELNS_24BlockGemmPipelineVersionE2ES6_S6_Lb0ELb0ELb0ELi0ELb0EEELb1ELNS_25InMemoryDataOperationEnumE1ELi1ELNS_10TailNumberE10EEEvNT_8ArgumentE,comdat
	.protected	_ZN2ck27kernel_gemm_xdl_cshuffle_v3INS_28GridwiseGemm_xdl_cshuffle_v3INS_13tensor_layout4gemm8RowMajorENS3_11ColumnMajorES4_NS_9f8_fnuz_tES6_fDF16_DF16_NS_16tensor_operation12element_wise11PassThroughES9_S9_LNS7_6device18GemmSpecializationE0ELi256ELi224ELi256ELi128ELi16ELi16ELi16ELi16ELi7ELi4ENS_8SequenceIJLi8ELi32ELi1EEEENSC_IJLi1ELi0ELi2EEEESE_Li2ELi16ELi16ELb0ELi0ESD_SE_SE_Li2ELi16ELi16ELb0ELi0ELi1ELi2ENSC_IJLi1ELi32ELi1ELi8EEEELi4ELNS_26BlockGemmPipelineSchedulerE0ELNS_24BlockGemmPipelineVersionE2ES6_S6_Lb0ELb0ELb0ELi0ELb0EEELb1ELNS_25InMemoryDataOperationEnumE1ELi1ELNS_10TailNumberE10EEEvNT_8ArgumentE ; -- Begin function _ZN2ck27kernel_gemm_xdl_cshuffle_v3INS_28GridwiseGemm_xdl_cshuffle_v3INS_13tensor_layout4gemm8RowMajorENS3_11ColumnMajorES4_NS_9f8_fnuz_tES6_fDF16_DF16_NS_16tensor_operation12element_wise11PassThroughES9_S9_LNS7_6device18GemmSpecializationE0ELi256ELi224ELi256ELi128ELi16ELi16ELi16ELi16ELi7ELi4ENS_8SequenceIJLi8ELi32ELi1EEEENSC_IJLi1ELi0ELi2EEEESE_Li2ELi16ELi16ELb0ELi0ESD_SE_SE_Li2ELi16ELi16ELb0ELi0ELi1ELi2ENSC_IJLi1ELi32ELi1ELi8EEEELi4ELNS_26BlockGemmPipelineSchedulerE0ELNS_24BlockGemmPipelineVersionE2ES6_S6_Lb0ELb0ELb0ELi0ELb0EEELb1ELNS_25InMemoryDataOperationEnumE1ELi1ELNS_10TailNumberE10EEEvNT_8ArgumentE
	.globl	_ZN2ck27kernel_gemm_xdl_cshuffle_v3INS_28GridwiseGemm_xdl_cshuffle_v3INS_13tensor_layout4gemm8RowMajorENS3_11ColumnMajorES4_NS_9f8_fnuz_tES6_fDF16_DF16_NS_16tensor_operation12element_wise11PassThroughES9_S9_LNS7_6device18GemmSpecializationE0ELi256ELi224ELi256ELi128ELi16ELi16ELi16ELi16ELi7ELi4ENS_8SequenceIJLi8ELi32ELi1EEEENSC_IJLi1ELi0ELi2EEEESE_Li2ELi16ELi16ELb0ELi0ESD_SE_SE_Li2ELi16ELi16ELb0ELi0ELi1ELi2ENSC_IJLi1ELi32ELi1ELi8EEEELi4ELNS_26BlockGemmPipelineSchedulerE0ELNS_24BlockGemmPipelineVersionE2ES6_S6_Lb0ELb0ELb0ELi0ELb0EEELb1ELNS_25InMemoryDataOperationEnumE1ELi1ELNS_10TailNumberE10EEEvNT_8ArgumentE
	.p2align	8
	.type	_ZN2ck27kernel_gemm_xdl_cshuffle_v3INS_28GridwiseGemm_xdl_cshuffle_v3INS_13tensor_layout4gemm8RowMajorENS3_11ColumnMajorES4_NS_9f8_fnuz_tES6_fDF16_DF16_NS_16tensor_operation12element_wise11PassThroughES9_S9_LNS7_6device18GemmSpecializationE0ELi256ELi224ELi256ELi128ELi16ELi16ELi16ELi16ELi7ELi4ENS_8SequenceIJLi8ELi32ELi1EEEENSC_IJLi1ELi0ELi2EEEESE_Li2ELi16ELi16ELb0ELi0ESD_SE_SE_Li2ELi16ELi16ELb0ELi0ELi1ELi2ENSC_IJLi1ELi32ELi1ELi8EEEELi4ELNS_26BlockGemmPipelineSchedulerE0ELNS_24BlockGemmPipelineVersionE2ES6_S6_Lb0ELb0ELb0ELi0ELb0EEELb1ELNS_25InMemoryDataOperationEnumE1ELi1ELNS_10TailNumberE10EEEvNT_8ArgumentE,@function
_ZN2ck27kernel_gemm_xdl_cshuffle_v3INS_28GridwiseGemm_xdl_cshuffle_v3INS_13tensor_layout4gemm8RowMajorENS3_11ColumnMajorES4_NS_9f8_fnuz_tES6_fDF16_DF16_NS_16tensor_operation12element_wise11PassThroughES9_S9_LNS7_6device18GemmSpecializationE0ELi256ELi224ELi256ELi128ELi16ELi16ELi16ELi16ELi7ELi4ENS_8SequenceIJLi8ELi32ELi1EEEENSC_IJLi1ELi0ELi2EEEESE_Li2ELi16ELi16ELb0ELi0ESD_SE_SE_Li2ELi16ELi16ELb0ELi0ELi1ELi2ENSC_IJLi1ELi32ELi1ELi8EEEELi4ELNS_26BlockGemmPipelineSchedulerE0ELNS_24BlockGemmPipelineVersionE2ES6_S6_Lb0ELb0ELb0ELi0ELb0EEELb1ELNS_25InMemoryDataOperationEnumE1ELi1ELNS_10TailNumberE10EEEvNT_8ArgumentE: ; @_ZN2ck27kernel_gemm_xdl_cshuffle_v3INS_28GridwiseGemm_xdl_cshuffle_v3INS_13tensor_layout4gemm8RowMajorENS3_11ColumnMajorES4_NS_9f8_fnuz_tES6_fDF16_DF16_NS_16tensor_operation12element_wise11PassThroughES9_S9_LNS7_6device18GemmSpecializationE0ELi256ELi224ELi256ELi128ELi16ELi16ELi16ELi16ELi7ELi4ENS_8SequenceIJLi8ELi32ELi1EEEENSC_IJLi1ELi0ELi2EEEESE_Li2ELi16ELi16ELb0ELi0ESD_SE_SE_Li2ELi16ELi16ELb0ELi0ELi1ELi2ENSC_IJLi1ELi32ELi1ELi8EEEELi4ELNS_26BlockGemmPipelineSchedulerE0ELNS_24BlockGemmPipelineVersionE2ES6_S6_Lb0ELb0ELb0ELi0ELb0EEELb1ELNS_25InMemoryDataOperationEnumE1ELi1ELNS_10TailNumberE10EEEvNT_8ArgumentE
; %bb.0:
	s_endpgm
	.section	.rodata,"a",@progbits
	.p2align	6, 0x0
	.amdhsa_kernel _ZN2ck27kernel_gemm_xdl_cshuffle_v3INS_28GridwiseGemm_xdl_cshuffle_v3INS_13tensor_layout4gemm8RowMajorENS3_11ColumnMajorES4_NS_9f8_fnuz_tES6_fDF16_DF16_NS_16tensor_operation12element_wise11PassThroughES9_S9_LNS7_6device18GemmSpecializationE0ELi256ELi224ELi256ELi128ELi16ELi16ELi16ELi16ELi7ELi4ENS_8SequenceIJLi8ELi32ELi1EEEENSC_IJLi1ELi0ELi2EEEESE_Li2ELi16ELi16ELb0ELi0ESD_SE_SE_Li2ELi16ELi16ELb0ELi0ELi1ELi2ENSC_IJLi1ELi32ELi1ELi8EEEELi4ELNS_26BlockGemmPipelineSchedulerE0ELNS_24BlockGemmPipelineVersionE2ES6_S6_Lb0ELb0ELb0ELi0ELb0EEELb1ELNS_25InMemoryDataOperationEnumE1ELi1ELNS_10TailNumberE10EEEvNT_8ArgumentE
		.amdhsa_group_segment_fixed_size 0
		.amdhsa_private_segment_fixed_size 0
		.amdhsa_kernarg_size 112
		.amdhsa_user_sgpr_count 2
		.amdhsa_user_sgpr_dispatch_ptr 0
		.amdhsa_user_sgpr_queue_ptr 0
		.amdhsa_user_sgpr_kernarg_segment_ptr 1
		.amdhsa_user_sgpr_dispatch_id 0
		.amdhsa_user_sgpr_kernarg_preload_length 0
		.amdhsa_user_sgpr_kernarg_preload_offset 0
		.amdhsa_user_sgpr_private_segment_size 0
		.amdhsa_uses_dynamic_stack 0
		.amdhsa_enable_private_segment 0
		.amdhsa_system_sgpr_workgroup_id_x 1
		.amdhsa_system_sgpr_workgroup_id_y 0
		.amdhsa_system_sgpr_workgroup_id_z 0
		.amdhsa_system_sgpr_workgroup_info 0
		.amdhsa_system_vgpr_workitem_id 0
		.amdhsa_next_free_vgpr 1
		.amdhsa_next_free_sgpr 0
		.amdhsa_accum_offset 4
		.amdhsa_reserve_vcc 0
		.amdhsa_float_round_mode_32 0
		.amdhsa_float_round_mode_16_64 0
		.amdhsa_float_denorm_mode_32 3
		.amdhsa_float_denorm_mode_16_64 3
		.amdhsa_dx10_clamp 1
		.amdhsa_ieee_mode 1
		.amdhsa_fp16_overflow 0
		.amdhsa_tg_split 0
		.amdhsa_exception_fp_ieee_invalid_op 0
		.amdhsa_exception_fp_denorm_src 0
		.amdhsa_exception_fp_ieee_div_zero 0
		.amdhsa_exception_fp_ieee_overflow 0
		.amdhsa_exception_fp_ieee_underflow 0
		.amdhsa_exception_fp_ieee_inexact 0
		.amdhsa_exception_int_div_zero 0
	.end_amdhsa_kernel
	.section	.text._ZN2ck27kernel_gemm_xdl_cshuffle_v3INS_28GridwiseGemm_xdl_cshuffle_v3INS_13tensor_layout4gemm8RowMajorENS3_11ColumnMajorES4_NS_9f8_fnuz_tES6_fDF16_DF16_NS_16tensor_operation12element_wise11PassThroughES9_S9_LNS7_6device18GemmSpecializationE0ELi256ELi224ELi256ELi128ELi16ELi16ELi16ELi16ELi7ELi4ENS_8SequenceIJLi8ELi32ELi1EEEENSC_IJLi1ELi0ELi2EEEESE_Li2ELi16ELi16ELb0ELi0ESD_SE_SE_Li2ELi16ELi16ELb0ELi0ELi1ELi2ENSC_IJLi1ELi32ELi1ELi8EEEELi4ELNS_26BlockGemmPipelineSchedulerE0ELNS_24BlockGemmPipelineVersionE2ES6_S6_Lb0ELb0ELb0ELi0ELb0EEELb1ELNS_25InMemoryDataOperationEnumE1ELi1ELNS_10TailNumberE10EEEvNT_8ArgumentE,"axG",@progbits,_ZN2ck27kernel_gemm_xdl_cshuffle_v3INS_28GridwiseGemm_xdl_cshuffle_v3INS_13tensor_layout4gemm8RowMajorENS3_11ColumnMajorES4_NS_9f8_fnuz_tES6_fDF16_DF16_NS_16tensor_operation12element_wise11PassThroughES9_S9_LNS7_6device18GemmSpecializationE0ELi256ELi224ELi256ELi128ELi16ELi16ELi16ELi16ELi7ELi4ENS_8SequenceIJLi8ELi32ELi1EEEENSC_IJLi1ELi0ELi2EEEESE_Li2ELi16ELi16ELb0ELi0ESD_SE_SE_Li2ELi16ELi16ELb0ELi0ELi1ELi2ENSC_IJLi1ELi32ELi1ELi8EEEELi4ELNS_26BlockGemmPipelineSchedulerE0ELNS_24BlockGemmPipelineVersionE2ES6_S6_Lb0ELb0ELb0ELi0ELb0EEELb1ELNS_25InMemoryDataOperationEnumE1ELi1ELNS_10TailNumberE10EEEvNT_8ArgumentE,comdat
.Lfunc_end3:
	.size	_ZN2ck27kernel_gemm_xdl_cshuffle_v3INS_28GridwiseGemm_xdl_cshuffle_v3INS_13tensor_layout4gemm8RowMajorENS3_11ColumnMajorES4_NS_9f8_fnuz_tES6_fDF16_DF16_NS_16tensor_operation12element_wise11PassThroughES9_S9_LNS7_6device18GemmSpecializationE0ELi256ELi224ELi256ELi128ELi16ELi16ELi16ELi16ELi7ELi4ENS_8SequenceIJLi8ELi32ELi1EEEENSC_IJLi1ELi0ELi2EEEESE_Li2ELi16ELi16ELb0ELi0ESD_SE_SE_Li2ELi16ELi16ELb0ELi0ELi1ELi2ENSC_IJLi1ELi32ELi1ELi8EEEELi4ELNS_26BlockGemmPipelineSchedulerE0ELNS_24BlockGemmPipelineVersionE2ES6_S6_Lb0ELb0ELb0ELi0ELb0EEELb1ELNS_25InMemoryDataOperationEnumE1ELi1ELNS_10TailNumberE10EEEvNT_8ArgumentE, .Lfunc_end3-_ZN2ck27kernel_gemm_xdl_cshuffle_v3INS_28GridwiseGemm_xdl_cshuffle_v3INS_13tensor_layout4gemm8RowMajorENS3_11ColumnMajorES4_NS_9f8_fnuz_tES6_fDF16_DF16_NS_16tensor_operation12element_wise11PassThroughES9_S9_LNS7_6device18GemmSpecializationE0ELi256ELi224ELi256ELi128ELi16ELi16ELi16ELi16ELi7ELi4ENS_8SequenceIJLi8ELi32ELi1EEEENSC_IJLi1ELi0ELi2EEEESE_Li2ELi16ELi16ELb0ELi0ESD_SE_SE_Li2ELi16ELi16ELb0ELi0ELi1ELi2ENSC_IJLi1ELi32ELi1ELi8EEEELi4ELNS_26BlockGemmPipelineSchedulerE0ELNS_24BlockGemmPipelineVersionE2ES6_S6_Lb0ELb0ELb0ELi0ELb0EEELb1ELNS_25InMemoryDataOperationEnumE1ELi1ELNS_10TailNumberE10EEEvNT_8ArgumentE
                                        ; -- End function
	.set _ZN2ck27kernel_gemm_xdl_cshuffle_v3INS_28GridwiseGemm_xdl_cshuffle_v3INS_13tensor_layout4gemm8RowMajorENS3_11ColumnMajorES4_NS_9f8_fnuz_tES6_fDF16_DF16_NS_16tensor_operation12element_wise11PassThroughES9_S9_LNS7_6device18GemmSpecializationE0ELi256ELi224ELi256ELi128ELi16ELi16ELi16ELi16ELi7ELi4ENS_8SequenceIJLi8ELi32ELi1EEEENSC_IJLi1ELi0ELi2EEEESE_Li2ELi16ELi16ELb0ELi0ESD_SE_SE_Li2ELi16ELi16ELb0ELi0ELi1ELi2ENSC_IJLi1ELi32ELi1ELi8EEEELi4ELNS_26BlockGemmPipelineSchedulerE0ELNS_24BlockGemmPipelineVersionE2ES6_S6_Lb0ELb0ELb0ELi0ELb0EEELb1ELNS_25InMemoryDataOperationEnumE1ELi1ELNS_10TailNumberE10EEEvNT_8ArgumentE.num_vgpr, 0
	.set _ZN2ck27kernel_gemm_xdl_cshuffle_v3INS_28GridwiseGemm_xdl_cshuffle_v3INS_13tensor_layout4gemm8RowMajorENS3_11ColumnMajorES4_NS_9f8_fnuz_tES6_fDF16_DF16_NS_16tensor_operation12element_wise11PassThroughES9_S9_LNS7_6device18GemmSpecializationE0ELi256ELi224ELi256ELi128ELi16ELi16ELi16ELi16ELi7ELi4ENS_8SequenceIJLi8ELi32ELi1EEEENSC_IJLi1ELi0ELi2EEEESE_Li2ELi16ELi16ELb0ELi0ESD_SE_SE_Li2ELi16ELi16ELb0ELi0ELi1ELi2ENSC_IJLi1ELi32ELi1ELi8EEEELi4ELNS_26BlockGemmPipelineSchedulerE0ELNS_24BlockGemmPipelineVersionE2ES6_S6_Lb0ELb0ELb0ELi0ELb0EEELb1ELNS_25InMemoryDataOperationEnumE1ELi1ELNS_10TailNumberE10EEEvNT_8ArgumentE.num_agpr, 0
	.set _ZN2ck27kernel_gemm_xdl_cshuffle_v3INS_28GridwiseGemm_xdl_cshuffle_v3INS_13tensor_layout4gemm8RowMajorENS3_11ColumnMajorES4_NS_9f8_fnuz_tES6_fDF16_DF16_NS_16tensor_operation12element_wise11PassThroughES9_S9_LNS7_6device18GemmSpecializationE0ELi256ELi224ELi256ELi128ELi16ELi16ELi16ELi16ELi7ELi4ENS_8SequenceIJLi8ELi32ELi1EEEENSC_IJLi1ELi0ELi2EEEESE_Li2ELi16ELi16ELb0ELi0ESD_SE_SE_Li2ELi16ELi16ELb0ELi0ELi1ELi2ENSC_IJLi1ELi32ELi1ELi8EEEELi4ELNS_26BlockGemmPipelineSchedulerE0ELNS_24BlockGemmPipelineVersionE2ES6_S6_Lb0ELb0ELb0ELi0ELb0EEELb1ELNS_25InMemoryDataOperationEnumE1ELi1ELNS_10TailNumberE10EEEvNT_8ArgumentE.numbered_sgpr, 0
	.set _ZN2ck27kernel_gemm_xdl_cshuffle_v3INS_28GridwiseGemm_xdl_cshuffle_v3INS_13tensor_layout4gemm8RowMajorENS3_11ColumnMajorES4_NS_9f8_fnuz_tES6_fDF16_DF16_NS_16tensor_operation12element_wise11PassThroughES9_S9_LNS7_6device18GemmSpecializationE0ELi256ELi224ELi256ELi128ELi16ELi16ELi16ELi16ELi7ELi4ENS_8SequenceIJLi8ELi32ELi1EEEENSC_IJLi1ELi0ELi2EEEESE_Li2ELi16ELi16ELb0ELi0ESD_SE_SE_Li2ELi16ELi16ELb0ELi0ELi1ELi2ENSC_IJLi1ELi32ELi1ELi8EEEELi4ELNS_26BlockGemmPipelineSchedulerE0ELNS_24BlockGemmPipelineVersionE2ES6_S6_Lb0ELb0ELb0ELi0ELb0EEELb1ELNS_25InMemoryDataOperationEnumE1ELi1ELNS_10TailNumberE10EEEvNT_8ArgumentE.num_named_barrier, 0
	.set _ZN2ck27kernel_gemm_xdl_cshuffle_v3INS_28GridwiseGemm_xdl_cshuffle_v3INS_13tensor_layout4gemm8RowMajorENS3_11ColumnMajorES4_NS_9f8_fnuz_tES6_fDF16_DF16_NS_16tensor_operation12element_wise11PassThroughES9_S9_LNS7_6device18GemmSpecializationE0ELi256ELi224ELi256ELi128ELi16ELi16ELi16ELi16ELi7ELi4ENS_8SequenceIJLi8ELi32ELi1EEEENSC_IJLi1ELi0ELi2EEEESE_Li2ELi16ELi16ELb0ELi0ESD_SE_SE_Li2ELi16ELi16ELb0ELi0ELi1ELi2ENSC_IJLi1ELi32ELi1ELi8EEEELi4ELNS_26BlockGemmPipelineSchedulerE0ELNS_24BlockGemmPipelineVersionE2ES6_S6_Lb0ELb0ELb0ELi0ELb0EEELb1ELNS_25InMemoryDataOperationEnumE1ELi1ELNS_10TailNumberE10EEEvNT_8ArgumentE.private_seg_size, 0
	.set _ZN2ck27kernel_gemm_xdl_cshuffle_v3INS_28GridwiseGemm_xdl_cshuffle_v3INS_13tensor_layout4gemm8RowMajorENS3_11ColumnMajorES4_NS_9f8_fnuz_tES6_fDF16_DF16_NS_16tensor_operation12element_wise11PassThroughES9_S9_LNS7_6device18GemmSpecializationE0ELi256ELi224ELi256ELi128ELi16ELi16ELi16ELi16ELi7ELi4ENS_8SequenceIJLi8ELi32ELi1EEEENSC_IJLi1ELi0ELi2EEEESE_Li2ELi16ELi16ELb0ELi0ESD_SE_SE_Li2ELi16ELi16ELb0ELi0ELi1ELi2ENSC_IJLi1ELi32ELi1ELi8EEEELi4ELNS_26BlockGemmPipelineSchedulerE0ELNS_24BlockGemmPipelineVersionE2ES6_S6_Lb0ELb0ELb0ELi0ELb0EEELb1ELNS_25InMemoryDataOperationEnumE1ELi1ELNS_10TailNumberE10EEEvNT_8ArgumentE.uses_vcc, 0
	.set _ZN2ck27kernel_gemm_xdl_cshuffle_v3INS_28GridwiseGemm_xdl_cshuffle_v3INS_13tensor_layout4gemm8RowMajorENS3_11ColumnMajorES4_NS_9f8_fnuz_tES6_fDF16_DF16_NS_16tensor_operation12element_wise11PassThroughES9_S9_LNS7_6device18GemmSpecializationE0ELi256ELi224ELi256ELi128ELi16ELi16ELi16ELi16ELi7ELi4ENS_8SequenceIJLi8ELi32ELi1EEEENSC_IJLi1ELi0ELi2EEEESE_Li2ELi16ELi16ELb0ELi0ESD_SE_SE_Li2ELi16ELi16ELb0ELi0ELi1ELi2ENSC_IJLi1ELi32ELi1ELi8EEEELi4ELNS_26BlockGemmPipelineSchedulerE0ELNS_24BlockGemmPipelineVersionE2ES6_S6_Lb0ELb0ELb0ELi0ELb0EEELb1ELNS_25InMemoryDataOperationEnumE1ELi1ELNS_10TailNumberE10EEEvNT_8ArgumentE.uses_flat_scratch, 0
	.set _ZN2ck27kernel_gemm_xdl_cshuffle_v3INS_28GridwiseGemm_xdl_cshuffle_v3INS_13tensor_layout4gemm8RowMajorENS3_11ColumnMajorES4_NS_9f8_fnuz_tES6_fDF16_DF16_NS_16tensor_operation12element_wise11PassThroughES9_S9_LNS7_6device18GemmSpecializationE0ELi256ELi224ELi256ELi128ELi16ELi16ELi16ELi16ELi7ELi4ENS_8SequenceIJLi8ELi32ELi1EEEENSC_IJLi1ELi0ELi2EEEESE_Li2ELi16ELi16ELb0ELi0ESD_SE_SE_Li2ELi16ELi16ELb0ELi0ELi1ELi2ENSC_IJLi1ELi32ELi1ELi8EEEELi4ELNS_26BlockGemmPipelineSchedulerE0ELNS_24BlockGemmPipelineVersionE2ES6_S6_Lb0ELb0ELb0ELi0ELb0EEELb1ELNS_25InMemoryDataOperationEnumE1ELi1ELNS_10TailNumberE10EEEvNT_8ArgumentE.has_dyn_sized_stack, 0
	.set _ZN2ck27kernel_gemm_xdl_cshuffle_v3INS_28GridwiseGemm_xdl_cshuffle_v3INS_13tensor_layout4gemm8RowMajorENS3_11ColumnMajorES4_NS_9f8_fnuz_tES6_fDF16_DF16_NS_16tensor_operation12element_wise11PassThroughES9_S9_LNS7_6device18GemmSpecializationE0ELi256ELi224ELi256ELi128ELi16ELi16ELi16ELi16ELi7ELi4ENS_8SequenceIJLi8ELi32ELi1EEEENSC_IJLi1ELi0ELi2EEEESE_Li2ELi16ELi16ELb0ELi0ESD_SE_SE_Li2ELi16ELi16ELb0ELi0ELi1ELi2ENSC_IJLi1ELi32ELi1ELi8EEEELi4ELNS_26BlockGemmPipelineSchedulerE0ELNS_24BlockGemmPipelineVersionE2ES6_S6_Lb0ELb0ELb0ELi0ELb0EEELb1ELNS_25InMemoryDataOperationEnumE1ELi1ELNS_10TailNumberE10EEEvNT_8ArgumentE.has_recursion, 0
	.set _ZN2ck27kernel_gemm_xdl_cshuffle_v3INS_28GridwiseGemm_xdl_cshuffle_v3INS_13tensor_layout4gemm8RowMajorENS3_11ColumnMajorES4_NS_9f8_fnuz_tES6_fDF16_DF16_NS_16tensor_operation12element_wise11PassThroughES9_S9_LNS7_6device18GemmSpecializationE0ELi256ELi224ELi256ELi128ELi16ELi16ELi16ELi16ELi7ELi4ENS_8SequenceIJLi8ELi32ELi1EEEENSC_IJLi1ELi0ELi2EEEESE_Li2ELi16ELi16ELb0ELi0ESD_SE_SE_Li2ELi16ELi16ELb0ELi0ELi1ELi2ENSC_IJLi1ELi32ELi1ELi8EEEELi4ELNS_26BlockGemmPipelineSchedulerE0ELNS_24BlockGemmPipelineVersionE2ES6_S6_Lb0ELb0ELb0ELi0ELb0EEELb1ELNS_25InMemoryDataOperationEnumE1ELi1ELNS_10TailNumberE10EEEvNT_8ArgumentE.has_indirect_call, 0
	.section	.AMDGPU.csdata,"",@progbits
; Kernel info:
; codeLenInByte = 4
; TotalNumSgprs: 6
; NumVgprs: 0
; NumAgprs: 0
; TotalNumVgprs: 0
; ScratchSize: 0
; MemoryBound: 0
; FloatMode: 240
; IeeeMode: 1
; LDSByteSize: 0 bytes/workgroup (compile time only)
; SGPRBlocks: 0
; VGPRBlocks: 0
; NumSGPRsForWavesPerEU: 6
; NumVGPRsForWavesPerEU: 1
; AccumOffset: 4
; Occupancy: 8
; WaveLimiterHint : 0
; COMPUTE_PGM_RSRC2:SCRATCH_EN: 0
; COMPUTE_PGM_RSRC2:USER_SGPR: 2
; COMPUTE_PGM_RSRC2:TRAP_HANDLER: 0
; COMPUTE_PGM_RSRC2:TGID_X_EN: 1
; COMPUTE_PGM_RSRC2:TGID_Y_EN: 0
; COMPUTE_PGM_RSRC2:TGID_Z_EN: 0
; COMPUTE_PGM_RSRC2:TIDIG_COMP_CNT: 0
; COMPUTE_PGM_RSRC3_GFX90A:ACCUM_OFFSET: 0
; COMPUTE_PGM_RSRC3_GFX90A:TG_SPLIT: 0
	.section	.text._ZN2ck27kernel_gemm_xdl_cshuffle_v3INS_28GridwiseGemm_xdl_cshuffle_v3INS_13tensor_layout4gemm8RowMajorENS3_11ColumnMajorES4_NS_9f8_fnuz_tES6_fDF16_DF16_NS_16tensor_operation12element_wise11PassThroughES9_S9_LNS7_6device18GemmSpecializationE0ELi256ELi224ELi256ELi128ELi16ELi16ELi16ELi16ELi7ELi4ENS_8SequenceIJLi8ELi32ELi1EEEENSC_IJLi1ELi0ELi2EEEESE_Li2ELi16ELi16ELb0ELi0ESD_SE_SE_Li2ELi16ELi16ELb0ELi0ELi1ELi2ENSC_IJLi1ELi32ELi1ELi8EEEELi4ELNS_26BlockGemmPipelineSchedulerE0ELNS_24BlockGemmPipelineVersionE2ES6_S6_Lb0ELb0ELb0ELi0ELb0EEELb1ELNS_25InMemoryDataOperationEnumE0ELi1ELNS_10TailNumberE10EEEvNT_8ArgumentE,"axG",@progbits,_ZN2ck27kernel_gemm_xdl_cshuffle_v3INS_28GridwiseGemm_xdl_cshuffle_v3INS_13tensor_layout4gemm8RowMajorENS3_11ColumnMajorES4_NS_9f8_fnuz_tES6_fDF16_DF16_NS_16tensor_operation12element_wise11PassThroughES9_S9_LNS7_6device18GemmSpecializationE0ELi256ELi224ELi256ELi128ELi16ELi16ELi16ELi16ELi7ELi4ENS_8SequenceIJLi8ELi32ELi1EEEENSC_IJLi1ELi0ELi2EEEESE_Li2ELi16ELi16ELb0ELi0ESD_SE_SE_Li2ELi16ELi16ELb0ELi0ELi1ELi2ENSC_IJLi1ELi32ELi1ELi8EEEELi4ELNS_26BlockGemmPipelineSchedulerE0ELNS_24BlockGemmPipelineVersionE2ES6_S6_Lb0ELb0ELb0ELi0ELb0EEELb1ELNS_25InMemoryDataOperationEnumE0ELi1ELNS_10TailNumberE10EEEvNT_8ArgumentE,comdat
	.protected	_ZN2ck27kernel_gemm_xdl_cshuffle_v3INS_28GridwiseGemm_xdl_cshuffle_v3INS_13tensor_layout4gemm8RowMajorENS3_11ColumnMajorES4_NS_9f8_fnuz_tES6_fDF16_DF16_NS_16tensor_operation12element_wise11PassThroughES9_S9_LNS7_6device18GemmSpecializationE0ELi256ELi224ELi256ELi128ELi16ELi16ELi16ELi16ELi7ELi4ENS_8SequenceIJLi8ELi32ELi1EEEENSC_IJLi1ELi0ELi2EEEESE_Li2ELi16ELi16ELb0ELi0ESD_SE_SE_Li2ELi16ELi16ELb0ELi0ELi1ELi2ENSC_IJLi1ELi32ELi1ELi8EEEELi4ELNS_26BlockGemmPipelineSchedulerE0ELNS_24BlockGemmPipelineVersionE2ES6_S6_Lb0ELb0ELb0ELi0ELb0EEELb1ELNS_25InMemoryDataOperationEnumE0ELi1ELNS_10TailNumberE10EEEvNT_8ArgumentE ; -- Begin function _ZN2ck27kernel_gemm_xdl_cshuffle_v3INS_28GridwiseGemm_xdl_cshuffle_v3INS_13tensor_layout4gemm8RowMajorENS3_11ColumnMajorES4_NS_9f8_fnuz_tES6_fDF16_DF16_NS_16tensor_operation12element_wise11PassThroughES9_S9_LNS7_6device18GemmSpecializationE0ELi256ELi224ELi256ELi128ELi16ELi16ELi16ELi16ELi7ELi4ENS_8SequenceIJLi8ELi32ELi1EEEENSC_IJLi1ELi0ELi2EEEESE_Li2ELi16ELi16ELb0ELi0ESD_SE_SE_Li2ELi16ELi16ELb0ELi0ELi1ELi2ENSC_IJLi1ELi32ELi1ELi8EEEELi4ELNS_26BlockGemmPipelineSchedulerE0ELNS_24BlockGemmPipelineVersionE2ES6_S6_Lb0ELb0ELb0ELi0ELb0EEELb1ELNS_25InMemoryDataOperationEnumE0ELi1ELNS_10TailNumberE10EEEvNT_8ArgumentE
	.globl	_ZN2ck27kernel_gemm_xdl_cshuffle_v3INS_28GridwiseGemm_xdl_cshuffle_v3INS_13tensor_layout4gemm8RowMajorENS3_11ColumnMajorES4_NS_9f8_fnuz_tES6_fDF16_DF16_NS_16tensor_operation12element_wise11PassThroughES9_S9_LNS7_6device18GemmSpecializationE0ELi256ELi224ELi256ELi128ELi16ELi16ELi16ELi16ELi7ELi4ENS_8SequenceIJLi8ELi32ELi1EEEENSC_IJLi1ELi0ELi2EEEESE_Li2ELi16ELi16ELb0ELi0ESD_SE_SE_Li2ELi16ELi16ELb0ELi0ELi1ELi2ENSC_IJLi1ELi32ELi1ELi8EEEELi4ELNS_26BlockGemmPipelineSchedulerE0ELNS_24BlockGemmPipelineVersionE2ES6_S6_Lb0ELb0ELb0ELi0ELb0EEELb1ELNS_25InMemoryDataOperationEnumE0ELi1ELNS_10TailNumberE10EEEvNT_8ArgumentE
	.p2align	8
	.type	_ZN2ck27kernel_gemm_xdl_cshuffle_v3INS_28GridwiseGemm_xdl_cshuffle_v3INS_13tensor_layout4gemm8RowMajorENS3_11ColumnMajorES4_NS_9f8_fnuz_tES6_fDF16_DF16_NS_16tensor_operation12element_wise11PassThroughES9_S9_LNS7_6device18GemmSpecializationE0ELi256ELi224ELi256ELi128ELi16ELi16ELi16ELi16ELi7ELi4ENS_8SequenceIJLi8ELi32ELi1EEEENSC_IJLi1ELi0ELi2EEEESE_Li2ELi16ELi16ELb0ELi0ESD_SE_SE_Li2ELi16ELi16ELb0ELi0ELi1ELi2ENSC_IJLi1ELi32ELi1ELi8EEEELi4ELNS_26BlockGemmPipelineSchedulerE0ELNS_24BlockGemmPipelineVersionE2ES6_S6_Lb0ELb0ELb0ELi0ELb0EEELb1ELNS_25InMemoryDataOperationEnumE0ELi1ELNS_10TailNumberE10EEEvNT_8ArgumentE,@function
_ZN2ck27kernel_gemm_xdl_cshuffle_v3INS_28GridwiseGemm_xdl_cshuffle_v3INS_13tensor_layout4gemm8RowMajorENS3_11ColumnMajorES4_NS_9f8_fnuz_tES6_fDF16_DF16_NS_16tensor_operation12element_wise11PassThroughES9_S9_LNS7_6device18GemmSpecializationE0ELi256ELi224ELi256ELi128ELi16ELi16ELi16ELi16ELi7ELi4ENS_8SequenceIJLi8ELi32ELi1EEEENSC_IJLi1ELi0ELi2EEEESE_Li2ELi16ELi16ELb0ELi0ESD_SE_SE_Li2ELi16ELi16ELb0ELi0ELi1ELi2ENSC_IJLi1ELi32ELi1ELi8EEEELi4ELNS_26BlockGemmPipelineSchedulerE0ELNS_24BlockGemmPipelineVersionE2ES6_S6_Lb0ELb0ELb0ELi0ELb0EEELb1ELNS_25InMemoryDataOperationEnumE0ELi1ELNS_10TailNumberE10EEEvNT_8ArgumentE: ; @_ZN2ck27kernel_gemm_xdl_cshuffle_v3INS_28GridwiseGemm_xdl_cshuffle_v3INS_13tensor_layout4gemm8RowMajorENS3_11ColumnMajorES4_NS_9f8_fnuz_tES6_fDF16_DF16_NS_16tensor_operation12element_wise11PassThroughES9_S9_LNS7_6device18GemmSpecializationE0ELi256ELi224ELi256ELi128ELi16ELi16ELi16ELi16ELi7ELi4ENS_8SequenceIJLi8ELi32ELi1EEEENSC_IJLi1ELi0ELi2EEEESE_Li2ELi16ELi16ELb0ELi0ESD_SE_SE_Li2ELi16ELi16ELb0ELi0ELi1ELi2ENSC_IJLi1ELi32ELi1ELi8EEEELi4ELNS_26BlockGemmPipelineSchedulerE0ELNS_24BlockGemmPipelineVersionE2ES6_S6_Lb0ELb0ELb0ELi0ELb0EEELb1ELNS_25InMemoryDataOperationEnumE0ELi1ELNS_10TailNumberE10EEEvNT_8ArgumentE
; %bb.0:
	s_endpgm
	.section	.rodata,"a",@progbits
	.p2align	6, 0x0
	.amdhsa_kernel _ZN2ck27kernel_gemm_xdl_cshuffle_v3INS_28GridwiseGemm_xdl_cshuffle_v3INS_13tensor_layout4gemm8RowMajorENS3_11ColumnMajorES4_NS_9f8_fnuz_tES6_fDF16_DF16_NS_16tensor_operation12element_wise11PassThroughES9_S9_LNS7_6device18GemmSpecializationE0ELi256ELi224ELi256ELi128ELi16ELi16ELi16ELi16ELi7ELi4ENS_8SequenceIJLi8ELi32ELi1EEEENSC_IJLi1ELi0ELi2EEEESE_Li2ELi16ELi16ELb0ELi0ESD_SE_SE_Li2ELi16ELi16ELb0ELi0ELi1ELi2ENSC_IJLi1ELi32ELi1ELi8EEEELi4ELNS_26BlockGemmPipelineSchedulerE0ELNS_24BlockGemmPipelineVersionE2ES6_S6_Lb0ELb0ELb0ELi0ELb0EEELb1ELNS_25InMemoryDataOperationEnumE0ELi1ELNS_10TailNumberE10EEEvNT_8ArgumentE
		.amdhsa_group_segment_fixed_size 0
		.amdhsa_private_segment_fixed_size 0
		.amdhsa_kernarg_size 112
		.amdhsa_user_sgpr_count 2
		.amdhsa_user_sgpr_dispatch_ptr 0
		.amdhsa_user_sgpr_queue_ptr 0
		.amdhsa_user_sgpr_kernarg_segment_ptr 1
		.amdhsa_user_sgpr_dispatch_id 0
		.amdhsa_user_sgpr_kernarg_preload_length 0
		.amdhsa_user_sgpr_kernarg_preload_offset 0
		.amdhsa_user_sgpr_private_segment_size 0
		.amdhsa_uses_dynamic_stack 0
		.amdhsa_enable_private_segment 0
		.amdhsa_system_sgpr_workgroup_id_x 1
		.amdhsa_system_sgpr_workgroup_id_y 0
		.amdhsa_system_sgpr_workgroup_id_z 0
		.amdhsa_system_sgpr_workgroup_info 0
		.amdhsa_system_vgpr_workitem_id 0
		.amdhsa_next_free_vgpr 1
		.amdhsa_next_free_sgpr 0
		.amdhsa_accum_offset 4
		.amdhsa_reserve_vcc 0
		.amdhsa_float_round_mode_32 0
		.amdhsa_float_round_mode_16_64 0
		.amdhsa_float_denorm_mode_32 3
		.amdhsa_float_denorm_mode_16_64 3
		.amdhsa_dx10_clamp 1
		.amdhsa_ieee_mode 1
		.amdhsa_fp16_overflow 0
		.amdhsa_tg_split 0
		.amdhsa_exception_fp_ieee_invalid_op 0
		.amdhsa_exception_fp_denorm_src 0
		.amdhsa_exception_fp_ieee_div_zero 0
		.amdhsa_exception_fp_ieee_overflow 0
		.amdhsa_exception_fp_ieee_underflow 0
		.amdhsa_exception_fp_ieee_inexact 0
		.amdhsa_exception_int_div_zero 0
	.end_amdhsa_kernel
	.section	.text._ZN2ck27kernel_gemm_xdl_cshuffle_v3INS_28GridwiseGemm_xdl_cshuffle_v3INS_13tensor_layout4gemm8RowMajorENS3_11ColumnMajorES4_NS_9f8_fnuz_tES6_fDF16_DF16_NS_16tensor_operation12element_wise11PassThroughES9_S9_LNS7_6device18GemmSpecializationE0ELi256ELi224ELi256ELi128ELi16ELi16ELi16ELi16ELi7ELi4ENS_8SequenceIJLi8ELi32ELi1EEEENSC_IJLi1ELi0ELi2EEEESE_Li2ELi16ELi16ELb0ELi0ESD_SE_SE_Li2ELi16ELi16ELb0ELi0ELi1ELi2ENSC_IJLi1ELi32ELi1ELi8EEEELi4ELNS_26BlockGemmPipelineSchedulerE0ELNS_24BlockGemmPipelineVersionE2ES6_S6_Lb0ELb0ELb0ELi0ELb0EEELb1ELNS_25InMemoryDataOperationEnumE0ELi1ELNS_10TailNumberE10EEEvNT_8ArgumentE,"axG",@progbits,_ZN2ck27kernel_gemm_xdl_cshuffle_v3INS_28GridwiseGemm_xdl_cshuffle_v3INS_13tensor_layout4gemm8RowMajorENS3_11ColumnMajorES4_NS_9f8_fnuz_tES6_fDF16_DF16_NS_16tensor_operation12element_wise11PassThroughES9_S9_LNS7_6device18GemmSpecializationE0ELi256ELi224ELi256ELi128ELi16ELi16ELi16ELi16ELi7ELi4ENS_8SequenceIJLi8ELi32ELi1EEEENSC_IJLi1ELi0ELi2EEEESE_Li2ELi16ELi16ELb0ELi0ESD_SE_SE_Li2ELi16ELi16ELb0ELi0ELi1ELi2ENSC_IJLi1ELi32ELi1ELi8EEEELi4ELNS_26BlockGemmPipelineSchedulerE0ELNS_24BlockGemmPipelineVersionE2ES6_S6_Lb0ELb0ELb0ELi0ELb0EEELb1ELNS_25InMemoryDataOperationEnumE0ELi1ELNS_10TailNumberE10EEEvNT_8ArgumentE,comdat
.Lfunc_end4:
	.size	_ZN2ck27kernel_gemm_xdl_cshuffle_v3INS_28GridwiseGemm_xdl_cshuffle_v3INS_13tensor_layout4gemm8RowMajorENS3_11ColumnMajorES4_NS_9f8_fnuz_tES6_fDF16_DF16_NS_16tensor_operation12element_wise11PassThroughES9_S9_LNS7_6device18GemmSpecializationE0ELi256ELi224ELi256ELi128ELi16ELi16ELi16ELi16ELi7ELi4ENS_8SequenceIJLi8ELi32ELi1EEEENSC_IJLi1ELi0ELi2EEEESE_Li2ELi16ELi16ELb0ELi0ESD_SE_SE_Li2ELi16ELi16ELb0ELi0ELi1ELi2ENSC_IJLi1ELi32ELi1ELi8EEEELi4ELNS_26BlockGemmPipelineSchedulerE0ELNS_24BlockGemmPipelineVersionE2ES6_S6_Lb0ELb0ELb0ELi0ELb0EEELb1ELNS_25InMemoryDataOperationEnumE0ELi1ELNS_10TailNumberE10EEEvNT_8ArgumentE, .Lfunc_end4-_ZN2ck27kernel_gemm_xdl_cshuffle_v3INS_28GridwiseGemm_xdl_cshuffle_v3INS_13tensor_layout4gemm8RowMajorENS3_11ColumnMajorES4_NS_9f8_fnuz_tES6_fDF16_DF16_NS_16tensor_operation12element_wise11PassThroughES9_S9_LNS7_6device18GemmSpecializationE0ELi256ELi224ELi256ELi128ELi16ELi16ELi16ELi16ELi7ELi4ENS_8SequenceIJLi8ELi32ELi1EEEENSC_IJLi1ELi0ELi2EEEESE_Li2ELi16ELi16ELb0ELi0ESD_SE_SE_Li2ELi16ELi16ELb0ELi0ELi1ELi2ENSC_IJLi1ELi32ELi1ELi8EEEELi4ELNS_26BlockGemmPipelineSchedulerE0ELNS_24BlockGemmPipelineVersionE2ES6_S6_Lb0ELb0ELb0ELi0ELb0EEELb1ELNS_25InMemoryDataOperationEnumE0ELi1ELNS_10TailNumberE10EEEvNT_8ArgumentE
                                        ; -- End function
	.set _ZN2ck27kernel_gemm_xdl_cshuffle_v3INS_28GridwiseGemm_xdl_cshuffle_v3INS_13tensor_layout4gemm8RowMajorENS3_11ColumnMajorES4_NS_9f8_fnuz_tES6_fDF16_DF16_NS_16tensor_operation12element_wise11PassThroughES9_S9_LNS7_6device18GemmSpecializationE0ELi256ELi224ELi256ELi128ELi16ELi16ELi16ELi16ELi7ELi4ENS_8SequenceIJLi8ELi32ELi1EEEENSC_IJLi1ELi0ELi2EEEESE_Li2ELi16ELi16ELb0ELi0ESD_SE_SE_Li2ELi16ELi16ELb0ELi0ELi1ELi2ENSC_IJLi1ELi32ELi1ELi8EEEELi4ELNS_26BlockGemmPipelineSchedulerE0ELNS_24BlockGemmPipelineVersionE2ES6_S6_Lb0ELb0ELb0ELi0ELb0EEELb1ELNS_25InMemoryDataOperationEnumE0ELi1ELNS_10TailNumberE10EEEvNT_8ArgumentE.num_vgpr, 0
	.set _ZN2ck27kernel_gemm_xdl_cshuffle_v3INS_28GridwiseGemm_xdl_cshuffle_v3INS_13tensor_layout4gemm8RowMajorENS3_11ColumnMajorES4_NS_9f8_fnuz_tES6_fDF16_DF16_NS_16tensor_operation12element_wise11PassThroughES9_S9_LNS7_6device18GemmSpecializationE0ELi256ELi224ELi256ELi128ELi16ELi16ELi16ELi16ELi7ELi4ENS_8SequenceIJLi8ELi32ELi1EEEENSC_IJLi1ELi0ELi2EEEESE_Li2ELi16ELi16ELb0ELi0ESD_SE_SE_Li2ELi16ELi16ELb0ELi0ELi1ELi2ENSC_IJLi1ELi32ELi1ELi8EEEELi4ELNS_26BlockGemmPipelineSchedulerE0ELNS_24BlockGemmPipelineVersionE2ES6_S6_Lb0ELb0ELb0ELi0ELb0EEELb1ELNS_25InMemoryDataOperationEnumE0ELi1ELNS_10TailNumberE10EEEvNT_8ArgumentE.num_agpr, 0
	.set _ZN2ck27kernel_gemm_xdl_cshuffle_v3INS_28GridwiseGemm_xdl_cshuffle_v3INS_13tensor_layout4gemm8RowMajorENS3_11ColumnMajorES4_NS_9f8_fnuz_tES6_fDF16_DF16_NS_16tensor_operation12element_wise11PassThroughES9_S9_LNS7_6device18GemmSpecializationE0ELi256ELi224ELi256ELi128ELi16ELi16ELi16ELi16ELi7ELi4ENS_8SequenceIJLi8ELi32ELi1EEEENSC_IJLi1ELi0ELi2EEEESE_Li2ELi16ELi16ELb0ELi0ESD_SE_SE_Li2ELi16ELi16ELb0ELi0ELi1ELi2ENSC_IJLi1ELi32ELi1ELi8EEEELi4ELNS_26BlockGemmPipelineSchedulerE0ELNS_24BlockGemmPipelineVersionE2ES6_S6_Lb0ELb0ELb0ELi0ELb0EEELb1ELNS_25InMemoryDataOperationEnumE0ELi1ELNS_10TailNumberE10EEEvNT_8ArgumentE.numbered_sgpr, 0
	.set _ZN2ck27kernel_gemm_xdl_cshuffle_v3INS_28GridwiseGemm_xdl_cshuffle_v3INS_13tensor_layout4gemm8RowMajorENS3_11ColumnMajorES4_NS_9f8_fnuz_tES6_fDF16_DF16_NS_16tensor_operation12element_wise11PassThroughES9_S9_LNS7_6device18GemmSpecializationE0ELi256ELi224ELi256ELi128ELi16ELi16ELi16ELi16ELi7ELi4ENS_8SequenceIJLi8ELi32ELi1EEEENSC_IJLi1ELi0ELi2EEEESE_Li2ELi16ELi16ELb0ELi0ESD_SE_SE_Li2ELi16ELi16ELb0ELi0ELi1ELi2ENSC_IJLi1ELi32ELi1ELi8EEEELi4ELNS_26BlockGemmPipelineSchedulerE0ELNS_24BlockGemmPipelineVersionE2ES6_S6_Lb0ELb0ELb0ELi0ELb0EEELb1ELNS_25InMemoryDataOperationEnumE0ELi1ELNS_10TailNumberE10EEEvNT_8ArgumentE.num_named_barrier, 0
	.set _ZN2ck27kernel_gemm_xdl_cshuffle_v3INS_28GridwiseGemm_xdl_cshuffle_v3INS_13tensor_layout4gemm8RowMajorENS3_11ColumnMajorES4_NS_9f8_fnuz_tES6_fDF16_DF16_NS_16tensor_operation12element_wise11PassThroughES9_S9_LNS7_6device18GemmSpecializationE0ELi256ELi224ELi256ELi128ELi16ELi16ELi16ELi16ELi7ELi4ENS_8SequenceIJLi8ELi32ELi1EEEENSC_IJLi1ELi0ELi2EEEESE_Li2ELi16ELi16ELb0ELi0ESD_SE_SE_Li2ELi16ELi16ELb0ELi0ELi1ELi2ENSC_IJLi1ELi32ELi1ELi8EEEELi4ELNS_26BlockGemmPipelineSchedulerE0ELNS_24BlockGemmPipelineVersionE2ES6_S6_Lb0ELb0ELb0ELi0ELb0EEELb1ELNS_25InMemoryDataOperationEnumE0ELi1ELNS_10TailNumberE10EEEvNT_8ArgumentE.private_seg_size, 0
	.set _ZN2ck27kernel_gemm_xdl_cshuffle_v3INS_28GridwiseGemm_xdl_cshuffle_v3INS_13tensor_layout4gemm8RowMajorENS3_11ColumnMajorES4_NS_9f8_fnuz_tES6_fDF16_DF16_NS_16tensor_operation12element_wise11PassThroughES9_S9_LNS7_6device18GemmSpecializationE0ELi256ELi224ELi256ELi128ELi16ELi16ELi16ELi16ELi7ELi4ENS_8SequenceIJLi8ELi32ELi1EEEENSC_IJLi1ELi0ELi2EEEESE_Li2ELi16ELi16ELb0ELi0ESD_SE_SE_Li2ELi16ELi16ELb0ELi0ELi1ELi2ENSC_IJLi1ELi32ELi1ELi8EEEELi4ELNS_26BlockGemmPipelineSchedulerE0ELNS_24BlockGemmPipelineVersionE2ES6_S6_Lb0ELb0ELb0ELi0ELb0EEELb1ELNS_25InMemoryDataOperationEnumE0ELi1ELNS_10TailNumberE10EEEvNT_8ArgumentE.uses_vcc, 0
	.set _ZN2ck27kernel_gemm_xdl_cshuffle_v3INS_28GridwiseGemm_xdl_cshuffle_v3INS_13tensor_layout4gemm8RowMajorENS3_11ColumnMajorES4_NS_9f8_fnuz_tES6_fDF16_DF16_NS_16tensor_operation12element_wise11PassThroughES9_S9_LNS7_6device18GemmSpecializationE0ELi256ELi224ELi256ELi128ELi16ELi16ELi16ELi16ELi7ELi4ENS_8SequenceIJLi8ELi32ELi1EEEENSC_IJLi1ELi0ELi2EEEESE_Li2ELi16ELi16ELb0ELi0ESD_SE_SE_Li2ELi16ELi16ELb0ELi0ELi1ELi2ENSC_IJLi1ELi32ELi1ELi8EEEELi4ELNS_26BlockGemmPipelineSchedulerE0ELNS_24BlockGemmPipelineVersionE2ES6_S6_Lb0ELb0ELb0ELi0ELb0EEELb1ELNS_25InMemoryDataOperationEnumE0ELi1ELNS_10TailNumberE10EEEvNT_8ArgumentE.uses_flat_scratch, 0
	.set _ZN2ck27kernel_gemm_xdl_cshuffle_v3INS_28GridwiseGemm_xdl_cshuffle_v3INS_13tensor_layout4gemm8RowMajorENS3_11ColumnMajorES4_NS_9f8_fnuz_tES6_fDF16_DF16_NS_16tensor_operation12element_wise11PassThroughES9_S9_LNS7_6device18GemmSpecializationE0ELi256ELi224ELi256ELi128ELi16ELi16ELi16ELi16ELi7ELi4ENS_8SequenceIJLi8ELi32ELi1EEEENSC_IJLi1ELi0ELi2EEEESE_Li2ELi16ELi16ELb0ELi0ESD_SE_SE_Li2ELi16ELi16ELb0ELi0ELi1ELi2ENSC_IJLi1ELi32ELi1ELi8EEEELi4ELNS_26BlockGemmPipelineSchedulerE0ELNS_24BlockGemmPipelineVersionE2ES6_S6_Lb0ELb0ELb0ELi0ELb0EEELb1ELNS_25InMemoryDataOperationEnumE0ELi1ELNS_10TailNumberE10EEEvNT_8ArgumentE.has_dyn_sized_stack, 0
	.set _ZN2ck27kernel_gemm_xdl_cshuffle_v3INS_28GridwiseGemm_xdl_cshuffle_v3INS_13tensor_layout4gemm8RowMajorENS3_11ColumnMajorES4_NS_9f8_fnuz_tES6_fDF16_DF16_NS_16tensor_operation12element_wise11PassThroughES9_S9_LNS7_6device18GemmSpecializationE0ELi256ELi224ELi256ELi128ELi16ELi16ELi16ELi16ELi7ELi4ENS_8SequenceIJLi8ELi32ELi1EEEENSC_IJLi1ELi0ELi2EEEESE_Li2ELi16ELi16ELb0ELi0ESD_SE_SE_Li2ELi16ELi16ELb0ELi0ELi1ELi2ENSC_IJLi1ELi32ELi1ELi8EEEELi4ELNS_26BlockGemmPipelineSchedulerE0ELNS_24BlockGemmPipelineVersionE2ES6_S6_Lb0ELb0ELb0ELi0ELb0EEELb1ELNS_25InMemoryDataOperationEnumE0ELi1ELNS_10TailNumberE10EEEvNT_8ArgumentE.has_recursion, 0
	.set _ZN2ck27kernel_gemm_xdl_cshuffle_v3INS_28GridwiseGemm_xdl_cshuffle_v3INS_13tensor_layout4gemm8RowMajorENS3_11ColumnMajorES4_NS_9f8_fnuz_tES6_fDF16_DF16_NS_16tensor_operation12element_wise11PassThroughES9_S9_LNS7_6device18GemmSpecializationE0ELi256ELi224ELi256ELi128ELi16ELi16ELi16ELi16ELi7ELi4ENS_8SequenceIJLi8ELi32ELi1EEEENSC_IJLi1ELi0ELi2EEEESE_Li2ELi16ELi16ELb0ELi0ESD_SE_SE_Li2ELi16ELi16ELb0ELi0ELi1ELi2ENSC_IJLi1ELi32ELi1ELi8EEEELi4ELNS_26BlockGemmPipelineSchedulerE0ELNS_24BlockGemmPipelineVersionE2ES6_S6_Lb0ELb0ELb0ELi0ELb0EEELb1ELNS_25InMemoryDataOperationEnumE0ELi1ELNS_10TailNumberE10EEEvNT_8ArgumentE.has_indirect_call, 0
	.section	.AMDGPU.csdata,"",@progbits
; Kernel info:
; codeLenInByte = 4
; TotalNumSgprs: 6
; NumVgprs: 0
; NumAgprs: 0
; TotalNumVgprs: 0
; ScratchSize: 0
; MemoryBound: 0
; FloatMode: 240
; IeeeMode: 1
; LDSByteSize: 0 bytes/workgroup (compile time only)
; SGPRBlocks: 0
; VGPRBlocks: 0
; NumSGPRsForWavesPerEU: 6
; NumVGPRsForWavesPerEU: 1
; AccumOffset: 4
; Occupancy: 8
; WaveLimiterHint : 0
; COMPUTE_PGM_RSRC2:SCRATCH_EN: 0
; COMPUTE_PGM_RSRC2:USER_SGPR: 2
; COMPUTE_PGM_RSRC2:TRAP_HANDLER: 0
; COMPUTE_PGM_RSRC2:TGID_X_EN: 1
; COMPUTE_PGM_RSRC2:TGID_Y_EN: 0
; COMPUTE_PGM_RSRC2:TGID_Z_EN: 0
; COMPUTE_PGM_RSRC2:TIDIG_COMP_CNT: 0
; COMPUTE_PGM_RSRC3_GFX90A:ACCUM_OFFSET: 0
; COMPUTE_PGM_RSRC3_GFX90A:TG_SPLIT: 0
	.section	.AMDGPU.gpr_maximums,"",@progbits
	.set amdgpu.max_num_vgpr, 0
	.set amdgpu.max_num_agpr, 0
	.set amdgpu.max_num_sgpr, 0
	.section	.AMDGPU.csdata,"",@progbits
	.type	__hip_cuid_4f41327aa6892c88,@object ; @__hip_cuid_4f41327aa6892c88
	.section	.bss,"aw",@nobits
	.globl	__hip_cuid_4f41327aa6892c88
__hip_cuid_4f41327aa6892c88:
	.byte	0                               ; 0x0
	.size	__hip_cuid_4f41327aa6892c88, 1

	.ident	"AMD clang version 22.0.0git (https://github.com/RadeonOpenCompute/llvm-project roc-7.2.4 26084 f58b06dce1f9c15707c5f808fd002e18c2accf7e)"
	.section	".note.GNU-stack","",@progbits
	.addrsig
	.addrsig_sym __hip_cuid_4f41327aa6892c88
	.amdgpu_metadata
---
amdhsa.kernels:
  - .agpr_count:     0
    .args:           []
    .group_segment_fixed_size: 0
    .kernarg_segment_align: 4
    .kernarg_segment_size: 0
    .language:       OpenCL C
    .language_version:
      - 2
      - 0
    .max_flat_workgroup_size: 1024
    .name:           _ZN2ckL12flush_icacheEv
    .private_segment_fixed_size: 0
    .sgpr_count:     6
    .sgpr_spill_count: 0
    .symbol:         _ZN2ckL12flush_icacheEv.kd
    .uniform_work_group_size: 1
    .uses_dynamic_stack: false
    .vgpr_count:     0
    .vgpr_spill_count: 0
    .wavefront_size: 64
  - .agpr_count:     224
    .args:
      - .offset:         0
        .size:           112
        .value_kind:     by_value
    .group_segment_fixed_size: 61440
    .kernarg_segment_align: 8
    .kernarg_segment_size: 112
    .language:       OpenCL C
    .language_version:
      - 2
      - 0
    .max_flat_workgroup_size: 256
    .name:           _ZN2ck27kernel_gemm_xdl_cshuffle_v3INS_28GridwiseGemm_xdl_cshuffle_v3INS_13tensor_layout4gemm8RowMajorENS3_11ColumnMajorES4_NS_9f8_fnuz_tES6_fDF16_DF16_NS_16tensor_operation12element_wise11PassThroughES9_S9_LNS7_6device18GemmSpecializationE0ELi256ELi224ELi256ELi128ELi16ELi16ELi16ELi16ELi7ELi8ENS_8SequenceIJLi8ELi32ELi1EEEENSC_IJLi1ELi0ELi2EEEESE_Li2ELi16ELi16ELb0ELi0ESD_SE_SE_Li2ELi16ELi16ELb0ELi0ELi1ELi2ENSC_IJLi1ELi32ELi1ELi8EEEELi4ELNS_26BlockGemmPipelineSchedulerE0ELNS_24BlockGemmPipelineVersionE2ES6_S6_Lb0ELb0ELb0ELi0ELb0EEELb1ELNS_25InMemoryDataOperationEnumE1ELi1ELNS_10TailNumberE10EEEvNT_8ArgumentE
    .private_segment_fixed_size: 0
    .sgpr_count:     38
    .sgpr_spill_count: 0
    .symbol:         _ZN2ck27kernel_gemm_xdl_cshuffle_v3INS_28GridwiseGemm_xdl_cshuffle_v3INS_13tensor_layout4gemm8RowMajorENS3_11ColumnMajorES4_NS_9f8_fnuz_tES6_fDF16_DF16_NS_16tensor_operation12element_wise11PassThroughES9_S9_LNS7_6device18GemmSpecializationE0ELi256ELi224ELi256ELi128ELi16ELi16ELi16ELi16ELi7ELi8ENS_8SequenceIJLi8ELi32ELi1EEEENSC_IJLi1ELi0ELi2EEEESE_Li2ELi16ELi16ELb0ELi0ESD_SE_SE_Li2ELi16ELi16ELb0ELi0ELi1ELi2ENSC_IJLi1ELi32ELi1ELi8EEEELi4ELNS_26BlockGemmPipelineSchedulerE0ELNS_24BlockGemmPipelineVersionE2ES6_S6_Lb0ELb0ELb0ELi0ELb0EEELb1ELNS_25InMemoryDataOperationEnumE1ELi1ELNS_10TailNumberE10EEEvNT_8ArgumentE.kd
    .uniform_work_group_size: 1
    .uses_dynamic_stack: false
    .vgpr_count:     456
    .vgpr_spill_count: 0
    .wavefront_size: 64
  - .agpr_count:     224
    .args:
      - .offset:         0
        .size:           112
        .value_kind:     by_value
    .group_segment_fixed_size: 61440
    .kernarg_segment_align: 8
    .kernarg_segment_size: 112
    .language:       OpenCL C
    .language_version:
      - 2
      - 0
    .max_flat_workgroup_size: 256
    .name:           _ZN2ck27kernel_gemm_xdl_cshuffle_v3INS_28GridwiseGemm_xdl_cshuffle_v3INS_13tensor_layout4gemm8RowMajorENS3_11ColumnMajorES4_NS_9f8_fnuz_tES6_fDF16_DF16_NS_16tensor_operation12element_wise11PassThroughES9_S9_LNS7_6device18GemmSpecializationE0ELi256ELi224ELi256ELi128ELi16ELi16ELi16ELi16ELi7ELi8ENS_8SequenceIJLi8ELi32ELi1EEEENSC_IJLi1ELi0ELi2EEEESE_Li2ELi16ELi16ELb0ELi0ESD_SE_SE_Li2ELi16ELi16ELb0ELi0ELi1ELi2ENSC_IJLi1ELi32ELi1ELi8EEEELi4ELNS_26BlockGemmPipelineSchedulerE0ELNS_24BlockGemmPipelineVersionE2ES6_S6_Lb0ELb0ELb0ELi0ELb0EEELb1ELNS_25InMemoryDataOperationEnumE0ELi1ELNS_10TailNumberE10EEEvNT_8ArgumentE
    .private_segment_fixed_size: 0
    .sgpr_count:     38
    .sgpr_spill_count: 0
    .symbol:         _ZN2ck27kernel_gemm_xdl_cshuffle_v3INS_28GridwiseGemm_xdl_cshuffle_v3INS_13tensor_layout4gemm8RowMajorENS3_11ColumnMajorES4_NS_9f8_fnuz_tES6_fDF16_DF16_NS_16tensor_operation12element_wise11PassThroughES9_S9_LNS7_6device18GemmSpecializationE0ELi256ELi224ELi256ELi128ELi16ELi16ELi16ELi16ELi7ELi8ENS_8SequenceIJLi8ELi32ELi1EEEENSC_IJLi1ELi0ELi2EEEESE_Li2ELi16ELi16ELb0ELi0ESD_SE_SE_Li2ELi16ELi16ELb0ELi0ELi1ELi2ENSC_IJLi1ELi32ELi1ELi8EEEELi4ELNS_26BlockGemmPipelineSchedulerE0ELNS_24BlockGemmPipelineVersionE2ES6_S6_Lb0ELb0ELb0ELi0ELb0EEELb1ELNS_25InMemoryDataOperationEnumE0ELi1ELNS_10TailNumberE10EEEvNT_8ArgumentE.kd
    .uniform_work_group_size: 1
    .uses_dynamic_stack: false
    .vgpr_count:     456
    .vgpr_spill_count: 0
    .wavefront_size: 64
  - .agpr_count:     0
    .args:
      - .offset:         0
        .size:           112
        .value_kind:     by_value
    .group_segment_fixed_size: 0
    .kernarg_segment_align: 8
    .kernarg_segment_size: 112
    .language:       OpenCL C
    .language_version:
      - 2
      - 0
    .max_flat_workgroup_size: 256
    .name:           _ZN2ck27kernel_gemm_xdl_cshuffle_v3INS_28GridwiseGemm_xdl_cshuffle_v3INS_13tensor_layout4gemm8RowMajorENS3_11ColumnMajorES4_NS_9f8_fnuz_tES6_fDF16_DF16_NS_16tensor_operation12element_wise11PassThroughES9_S9_LNS7_6device18GemmSpecializationE0ELi256ELi224ELi256ELi128ELi16ELi16ELi16ELi16ELi7ELi4ENS_8SequenceIJLi8ELi32ELi1EEEENSC_IJLi1ELi0ELi2EEEESE_Li2ELi16ELi16ELb0ELi0ESD_SE_SE_Li2ELi16ELi16ELb0ELi0ELi1ELi2ENSC_IJLi1ELi32ELi1ELi8EEEELi4ELNS_26BlockGemmPipelineSchedulerE0ELNS_24BlockGemmPipelineVersionE2ES6_S6_Lb0ELb0ELb0ELi0ELb0EEELb1ELNS_25InMemoryDataOperationEnumE1ELi1ELNS_10TailNumberE10EEEvNT_8ArgumentE
    .private_segment_fixed_size: 0
    .sgpr_count:     6
    .sgpr_spill_count: 0
    .symbol:         _ZN2ck27kernel_gemm_xdl_cshuffle_v3INS_28GridwiseGemm_xdl_cshuffle_v3INS_13tensor_layout4gemm8RowMajorENS3_11ColumnMajorES4_NS_9f8_fnuz_tES6_fDF16_DF16_NS_16tensor_operation12element_wise11PassThroughES9_S9_LNS7_6device18GemmSpecializationE0ELi256ELi224ELi256ELi128ELi16ELi16ELi16ELi16ELi7ELi4ENS_8SequenceIJLi8ELi32ELi1EEEENSC_IJLi1ELi0ELi2EEEESE_Li2ELi16ELi16ELb0ELi0ESD_SE_SE_Li2ELi16ELi16ELb0ELi0ELi1ELi2ENSC_IJLi1ELi32ELi1ELi8EEEELi4ELNS_26BlockGemmPipelineSchedulerE0ELNS_24BlockGemmPipelineVersionE2ES6_S6_Lb0ELb0ELb0ELi0ELb0EEELb1ELNS_25InMemoryDataOperationEnumE1ELi1ELNS_10TailNumberE10EEEvNT_8ArgumentE.kd
    .uniform_work_group_size: 1
    .uses_dynamic_stack: false
    .vgpr_count:     0
    .vgpr_spill_count: 0
    .wavefront_size: 64
  - .agpr_count:     0
    .args:
      - .offset:         0
        .size:           112
        .value_kind:     by_value
    .group_segment_fixed_size: 0
    .kernarg_segment_align: 8
    .kernarg_segment_size: 112
    .language:       OpenCL C
    .language_version:
      - 2
      - 0
    .max_flat_workgroup_size: 256
    .name:           _ZN2ck27kernel_gemm_xdl_cshuffle_v3INS_28GridwiseGemm_xdl_cshuffle_v3INS_13tensor_layout4gemm8RowMajorENS3_11ColumnMajorES4_NS_9f8_fnuz_tES6_fDF16_DF16_NS_16tensor_operation12element_wise11PassThroughES9_S9_LNS7_6device18GemmSpecializationE0ELi256ELi224ELi256ELi128ELi16ELi16ELi16ELi16ELi7ELi4ENS_8SequenceIJLi8ELi32ELi1EEEENSC_IJLi1ELi0ELi2EEEESE_Li2ELi16ELi16ELb0ELi0ESD_SE_SE_Li2ELi16ELi16ELb0ELi0ELi1ELi2ENSC_IJLi1ELi32ELi1ELi8EEEELi4ELNS_26BlockGemmPipelineSchedulerE0ELNS_24BlockGemmPipelineVersionE2ES6_S6_Lb0ELb0ELb0ELi0ELb0EEELb1ELNS_25InMemoryDataOperationEnumE0ELi1ELNS_10TailNumberE10EEEvNT_8ArgumentE
    .private_segment_fixed_size: 0
    .sgpr_count:     6
    .sgpr_spill_count: 0
    .symbol:         _ZN2ck27kernel_gemm_xdl_cshuffle_v3INS_28GridwiseGemm_xdl_cshuffle_v3INS_13tensor_layout4gemm8RowMajorENS3_11ColumnMajorES4_NS_9f8_fnuz_tES6_fDF16_DF16_NS_16tensor_operation12element_wise11PassThroughES9_S9_LNS7_6device18GemmSpecializationE0ELi256ELi224ELi256ELi128ELi16ELi16ELi16ELi16ELi7ELi4ENS_8SequenceIJLi8ELi32ELi1EEEENSC_IJLi1ELi0ELi2EEEESE_Li2ELi16ELi16ELb0ELi0ESD_SE_SE_Li2ELi16ELi16ELb0ELi0ELi1ELi2ENSC_IJLi1ELi32ELi1ELi8EEEELi4ELNS_26BlockGemmPipelineSchedulerE0ELNS_24BlockGemmPipelineVersionE2ES6_S6_Lb0ELb0ELb0ELi0ELb0EEELb1ELNS_25InMemoryDataOperationEnumE0ELi1ELNS_10TailNumberE10EEEvNT_8ArgumentE.kd
    .uniform_work_group_size: 1
    .uses_dynamic_stack: false
    .vgpr_count:     0
    .vgpr_spill_count: 0
    .wavefront_size: 64
amdhsa.target:   amdgcn-amd-amdhsa--gfx950
amdhsa.version:
  - 1
  - 2
...

	.end_amdgpu_metadata
